;; amdgpu-corpus repo=ROCm/rocFFT kind=compiled arch=gfx906 opt=O3
	.text
	.amdgcn_target "amdgcn-amd-amdhsa--gfx906"
	.amdhsa_code_object_version 6
	.protected	fft_rtc_back_len1377_factors_17_3_9_3_wgs_51_tpt_51_halfLds_sp_ip_CI_sbrr_dirReg ; -- Begin function fft_rtc_back_len1377_factors_17_3_9_3_wgs_51_tpt_51_halfLds_sp_ip_CI_sbrr_dirReg
	.globl	fft_rtc_back_len1377_factors_17_3_9_3_wgs_51_tpt_51_halfLds_sp_ip_CI_sbrr_dirReg
	.p2align	8
	.type	fft_rtc_back_len1377_factors_17_3_9_3_wgs_51_tpt_51_halfLds_sp_ip_CI_sbrr_dirReg,@function
fft_rtc_back_len1377_factors_17_3_9_3_wgs_51_tpt_51_halfLds_sp_ip_CI_sbrr_dirReg: ; @fft_rtc_back_len1377_factors_17_3_9_3_wgs_51_tpt_51_halfLds_sp_ip_CI_sbrr_dirReg
; %bb.0:
	s_load_dwordx2 s[14:15], s[4:5], 0x18
	s_load_dwordx4 s[8:11], s[4:5], 0x0
	s_load_dwordx2 s[12:13], s[4:5], 0x50
	v_mul_u32_u24_e32 v1, 0x506, v0
	v_add_u32_sdwa v5, s6, v1 dst_sel:DWORD dst_unused:UNUSED_PAD src0_sel:DWORD src1_sel:WORD_1
	s_waitcnt lgkmcnt(0)
	s_load_dwordx2 s[2:3], s[14:15], 0x0
	v_cmp_lt_u64_e64 s[0:1], s[10:11], 2
	v_mov_b32_e32 v3, 0
	v_mov_b32_e32 v1, 0
	;; [unrolled: 1-line block ×3, first 2 shown]
	s_and_b64 vcc, exec, s[0:1]
	v_mov_b32_e32 v2, 0
	s_cbranch_vccnz .LBB0_8
; %bb.1:
	s_load_dwordx2 s[0:1], s[4:5], 0x10
	s_add_u32 s6, s14, 8
	s_addc_u32 s7, s15, 0
	v_mov_b32_e32 v1, 0
	v_mov_b32_e32 v2, 0
	s_waitcnt lgkmcnt(0)
	s_add_u32 s16, s0, 8
	s_addc_u32 s17, s1, 0
	s_mov_b64 s[18:19], 1
.LBB0_2:                                ; =>This Inner Loop Header: Depth=1
	s_load_dwordx2 s[20:21], s[16:17], 0x0
                                        ; implicit-def: $vgpr7_vgpr8
	s_waitcnt lgkmcnt(0)
	v_or_b32_e32 v4, s21, v6
	v_cmp_ne_u64_e32 vcc, 0, v[3:4]
	s_and_saveexec_b64 s[0:1], vcc
	s_xor_b64 s[22:23], exec, s[0:1]
	s_cbranch_execz .LBB0_4
; %bb.3:                                ;   in Loop: Header=BB0_2 Depth=1
	v_cvt_f32_u32_e32 v4, s20
	v_cvt_f32_u32_e32 v7, s21
	s_sub_u32 s0, 0, s20
	s_subb_u32 s1, 0, s21
	v_mac_f32_e32 v4, 0x4f800000, v7
	v_rcp_f32_e32 v4, v4
	v_mul_f32_e32 v4, 0x5f7ffffc, v4
	v_mul_f32_e32 v7, 0x2f800000, v4
	v_trunc_f32_e32 v7, v7
	v_mac_f32_e32 v4, 0xcf800000, v7
	v_cvt_u32_f32_e32 v7, v7
	v_cvt_u32_f32_e32 v4, v4
	v_mul_lo_u32 v8, s0, v7
	v_mul_hi_u32 v9, s0, v4
	v_mul_lo_u32 v11, s1, v4
	v_mul_lo_u32 v10, s0, v4
	v_add_u32_e32 v8, v9, v8
	v_add_u32_e32 v8, v8, v11
	v_mul_hi_u32 v9, v4, v10
	v_mul_lo_u32 v11, v4, v8
	v_mul_hi_u32 v13, v4, v8
	v_mul_hi_u32 v12, v7, v10
	v_mul_lo_u32 v10, v7, v10
	v_mul_hi_u32 v14, v7, v8
	v_add_co_u32_e32 v9, vcc, v9, v11
	v_addc_co_u32_e32 v11, vcc, 0, v13, vcc
	v_mul_lo_u32 v8, v7, v8
	v_add_co_u32_e32 v9, vcc, v9, v10
	v_addc_co_u32_e32 v9, vcc, v11, v12, vcc
	v_addc_co_u32_e32 v10, vcc, 0, v14, vcc
	v_add_co_u32_e32 v8, vcc, v9, v8
	v_addc_co_u32_e32 v9, vcc, 0, v10, vcc
	v_add_co_u32_e32 v4, vcc, v4, v8
	v_addc_co_u32_e32 v7, vcc, v7, v9, vcc
	v_mul_lo_u32 v8, s0, v7
	v_mul_hi_u32 v9, s0, v4
	v_mul_lo_u32 v10, s1, v4
	v_mul_lo_u32 v11, s0, v4
	v_add_u32_e32 v8, v9, v8
	v_add_u32_e32 v8, v8, v10
	v_mul_lo_u32 v12, v4, v8
	v_mul_hi_u32 v13, v4, v11
	v_mul_hi_u32 v14, v4, v8
	;; [unrolled: 1-line block ×3, first 2 shown]
	v_mul_lo_u32 v11, v7, v11
	v_mul_hi_u32 v9, v7, v8
	v_add_co_u32_e32 v12, vcc, v13, v12
	v_addc_co_u32_e32 v13, vcc, 0, v14, vcc
	v_mul_lo_u32 v8, v7, v8
	v_add_co_u32_e32 v11, vcc, v12, v11
	v_addc_co_u32_e32 v10, vcc, v13, v10, vcc
	v_addc_co_u32_e32 v9, vcc, 0, v9, vcc
	v_add_co_u32_e32 v8, vcc, v10, v8
	v_addc_co_u32_e32 v9, vcc, 0, v9, vcc
	v_add_co_u32_e32 v4, vcc, v4, v8
	v_addc_co_u32_e32 v9, vcc, v7, v9, vcc
	v_mad_u64_u32 v[7:8], s[0:1], v5, v9, 0
	v_mul_hi_u32 v10, v5, v4
	v_add_co_u32_e32 v11, vcc, v10, v7
	v_addc_co_u32_e32 v12, vcc, 0, v8, vcc
	v_mad_u64_u32 v[7:8], s[0:1], v6, v4, 0
	v_mad_u64_u32 v[9:10], s[0:1], v6, v9, 0
	v_add_co_u32_e32 v4, vcc, v11, v7
	v_addc_co_u32_e32 v4, vcc, v12, v8, vcc
	v_addc_co_u32_e32 v7, vcc, 0, v10, vcc
	v_add_co_u32_e32 v4, vcc, v4, v9
	v_addc_co_u32_e32 v9, vcc, 0, v7, vcc
	v_mul_lo_u32 v10, s21, v4
	v_mul_lo_u32 v11, s20, v9
	v_mad_u64_u32 v[7:8], s[0:1], s20, v4, 0
	v_add3_u32 v8, v8, v11, v10
	v_sub_u32_e32 v10, v6, v8
	v_mov_b32_e32 v11, s21
	v_sub_co_u32_e32 v7, vcc, v5, v7
	v_subb_co_u32_e64 v10, s[0:1], v10, v11, vcc
	v_subrev_co_u32_e64 v11, s[0:1], s20, v7
	v_subbrev_co_u32_e64 v10, s[0:1], 0, v10, s[0:1]
	v_cmp_le_u32_e64 s[0:1], s21, v10
	v_cndmask_b32_e64 v12, 0, -1, s[0:1]
	v_cmp_le_u32_e64 s[0:1], s20, v11
	v_cndmask_b32_e64 v11, 0, -1, s[0:1]
	v_cmp_eq_u32_e64 s[0:1], s21, v10
	v_cndmask_b32_e64 v10, v12, v11, s[0:1]
	v_add_co_u32_e64 v11, s[0:1], 2, v4
	v_addc_co_u32_e64 v12, s[0:1], 0, v9, s[0:1]
	v_add_co_u32_e64 v13, s[0:1], 1, v4
	v_addc_co_u32_e64 v14, s[0:1], 0, v9, s[0:1]
	v_subb_co_u32_e32 v8, vcc, v6, v8, vcc
	v_cmp_ne_u32_e64 s[0:1], 0, v10
	v_cmp_le_u32_e32 vcc, s21, v8
	v_cndmask_b32_e64 v10, v14, v12, s[0:1]
	v_cndmask_b32_e64 v12, 0, -1, vcc
	v_cmp_le_u32_e32 vcc, s20, v7
	v_cndmask_b32_e64 v7, 0, -1, vcc
	v_cmp_eq_u32_e32 vcc, s21, v8
	v_cndmask_b32_e32 v7, v12, v7, vcc
	v_cmp_ne_u32_e32 vcc, 0, v7
	v_cndmask_b32_e64 v7, v13, v11, s[0:1]
	v_cndmask_b32_e32 v8, v9, v10, vcc
	v_cndmask_b32_e32 v7, v4, v7, vcc
.LBB0_4:                                ;   in Loop: Header=BB0_2 Depth=1
	s_andn2_saveexec_b64 s[0:1], s[22:23]
	s_cbranch_execz .LBB0_6
; %bb.5:                                ;   in Loop: Header=BB0_2 Depth=1
	v_cvt_f32_u32_e32 v4, s20
	s_sub_i32 s22, 0, s20
	v_rcp_iflag_f32_e32 v4, v4
	v_mul_f32_e32 v4, 0x4f7ffffe, v4
	v_cvt_u32_f32_e32 v4, v4
	v_mul_lo_u32 v7, s22, v4
	v_mul_hi_u32 v7, v4, v7
	v_add_u32_e32 v4, v4, v7
	v_mul_hi_u32 v4, v5, v4
	v_mul_lo_u32 v7, v4, s20
	v_add_u32_e32 v8, 1, v4
	v_sub_u32_e32 v7, v5, v7
	v_subrev_u32_e32 v9, s20, v7
	v_cmp_le_u32_e32 vcc, s20, v7
	v_cndmask_b32_e32 v7, v7, v9, vcc
	v_cndmask_b32_e32 v4, v4, v8, vcc
	v_add_u32_e32 v8, 1, v4
	v_cmp_le_u32_e32 vcc, s20, v7
	v_cndmask_b32_e32 v7, v4, v8, vcc
	v_mov_b32_e32 v8, v3
.LBB0_6:                                ;   in Loop: Header=BB0_2 Depth=1
	s_or_b64 exec, exec, s[0:1]
	v_mul_lo_u32 v4, v8, s20
	v_mul_lo_u32 v11, v7, s21
	v_mad_u64_u32 v[9:10], s[0:1], v7, s20, 0
	s_load_dwordx2 s[0:1], s[6:7], 0x0
	s_add_u32 s18, s18, 1
	v_add3_u32 v4, v10, v11, v4
	v_sub_co_u32_e32 v5, vcc, v5, v9
	v_subb_co_u32_e32 v4, vcc, v6, v4, vcc
	s_waitcnt lgkmcnt(0)
	v_mul_lo_u32 v4, s0, v4
	v_mul_lo_u32 v6, s1, v5
	v_mad_u64_u32 v[1:2], s[0:1], s0, v5, v[1:2]
	s_addc_u32 s19, s19, 0
	s_add_u32 s6, s6, 8
	v_add3_u32 v2, v6, v2, v4
	v_mov_b32_e32 v4, s10
	v_mov_b32_e32 v5, s11
	s_addc_u32 s7, s7, 0
	v_cmp_ge_u64_e32 vcc, s[18:19], v[4:5]
	s_add_u32 s16, s16, 8
	s_addc_u32 s17, s17, 0
	s_cbranch_vccnz .LBB0_9
; %bb.7:                                ;   in Loop: Header=BB0_2 Depth=1
	v_mov_b32_e32 v5, v7
	v_mov_b32_e32 v6, v8
	s_branch .LBB0_2
.LBB0_8:
	v_mov_b32_e32 v8, v6
	v_mov_b32_e32 v7, v5
.LBB0_9:
	s_lshl_b64 s[0:1], s[10:11], 3
	s_add_u32 s0, s14, s0
	s_addc_u32 s1, s15, s1
	s_load_dwordx2 s[6:7], s[0:1], 0x0
	s_load_dwordx2 s[10:11], s[4:5], 0x20
	v_mov_b32_e32 v11, 0
	v_mov_b32_e32 v10, 0
                                        ; implicit-def: $vgpr57
                                        ; implicit-def: $vgpr65
                                        ; implicit-def: $vgpr59
                                        ; implicit-def: $vgpr53
                                        ; implicit-def: $vgpr47
                                        ; implicit-def: $vgpr41
                                        ; implicit-def: $vgpr35
                                        ; implicit-def: $vgpr29
                                        ; implicit-def: $vgpr23
                                        ; implicit-def: $vgpr25
                                        ; implicit-def: $vgpr31
                                        ; implicit-def: $vgpr39
                                        ; implicit-def: $vgpr45
                                        ; implicit-def: $vgpr51
                                        ; implicit-def: $vgpr33
                                        ; implicit-def: $vgpr27
                                        ; implicit-def: $vgpr17
                                        ; implicit-def: $vgpr21
                                        ; implicit-def: $vgpr15
                                        ; implicit-def: $vgpr9
                                        ; implicit-def: $vgpr63
                                        ; implicit-def: $vgpr55
                                        ; implicit-def: $vgpr49
                                        ; implicit-def: $vgpr43
                                        ; implicit-def: $vgpr37
                                        ; implicit-def: $vgpr19
                                        ; implicit-def: $vgpr13
                                        ; implicit-def: $vgpr69
                                        ; implicit-def: $vgpr67
                                        ; implicit-def: $vgpr61
	s_waitcnt lgkmcnt(0)
	v_mad_u64_u32 v[1:2], s[0:1], s6, v7, v[1:2]
	s_mov_b32 s0, 0x5050506
	v_mul_lo_u32 v3, s6, v8
	v_mul_lo_u32 v4, s7, v7
	v_mul_hi_u32 v5, v0, s0
	v_cmp_gt_u64_e32 vcc, s[10:11], v[7:8]
                                        ; implicit-def: $vgpr7
	v_add3_u32 v2, v4, v2, v3
	v_mul_u32_u24_e32 v3, 51, v5
	v_sub_u32_e32 v70, v0, v3
	v_lshlrev_b64 v[0:1], 3, v[1:2]
                                        ; implicit-def: $vgpr3
                                        ; implicit-def: $vgpr5
	s_and_saveexec_b64 s[4:5], vcc
	s_cbranch_execz .LBB0_13
; %bb.10:
	v_mad_u64_u32 v[2:3], s[0:1], s2, v70, 0
	v_add_u32_e32 v7, 0x51, v70
	v_mov_b32_e32 v6, s13
	v_mad_u64_u32 v[3:4], s[0:1], s3, v70, v[3:4]
	v_mad_u64_u32 v[4:5], s[0:1], s2, v7, 0
	v_add_co_u32_e64 v63, s[0:1], s12, v0
	v_addc_co_u32_e64 v71, s[0:1], v6, v1, s[0:1]
	v_mad_u64_u32 v[5:6], s[0:1], s3, v7, v[5:6]
	v_add_u32_e32 v8, 0xa2, v70
	v_mad_u64_u32 v[6:7], s[0:1], s2, v8, 0
	v_lshlrev_b64 v[2:3], 3, v[2:3]
	v_add_u32_e32 v10, 0xf3, v70
	v_add_co_u32_e64 v2, s[0:1], v63, v2
	v_addc_co_u32_e64 v3, s[0:1], v71, v3, s[0:1]
	v_mad_u64_u32 v[7:8], s[0:1], s3, v8, v[7:8]
	v_mad_u64_u32 v[8:9], s[0:1], s2, v10, 0
	v_lshlrev_b64 v[4:5], 3, v[4:5]
	v_add_u32_e32 v12, 0x144, v70
	v_add_co_u32_e64 v4, s[0:1], v63, v4
	v_addc_co_u32_e64 v5, s[0:1], v71, v5, s[0:1]
	v_mad_u64_u32 v[9:10], s[0:1], s3, v10, v[9:10]
	;; [unrolled: 6-line block ×10, first 2 shown]
	v_mad_u64_u32 v[26:27], s[0:1], s2, v28, 0
	v_lshlrev_b64 v[22:23], 3, v[22:23]
                                        ; implicit-def: $vgpr62
	v_add_co_u32_e64 v32, s[0:1], v63, v22
	v_addc_co_u32_e64 v33, s[0:1], v71, v23, s[0:1]
	v_lshlrev_b64 v[22:23], 3, v[24:25]
	v_mov_b32_e32 v24, v27
	v_mad_u64_u32 v[24:25], s[0:1], s3, v28, v[24:25]
	v_add_u32_e32 v25, 0x41d, v70
	v_mad_u64_u32 v[28:29], s[0:1], s2, v25, 0
	v_add_co_u32_e64 v36, s[0:1], v63, v22
	v_mov_b32_e32 v27, v24
	v_mov_b32_e32 v24, v29
	v_addc_co_u32_e64 v37, s[0:1], v71, v23, s[0:1]
	v_lshlrev_b64 v[22:23], 3, v[26:27]
	v_mad_u64_u32 v[24:25], s[0:1], s3, v25, v[24:25]
	v_add_u32_e32 v27, 0x46e, v70
	v_mad_u64_u32 v[25:26], s[0:1], s2, v27, 0
	v_add_co_u32_e64 v42, s[0:1], v63, v22
	v_mov_b32_e32 v29, v24
	v_mov_b32_e32 v24, v26
	v_addc_co_u32_e64 v43, s[0:1], v71, v23, s[0:1]
	v_lshlrev_b64 v[22:23], 3, v[28:29]
	v_mad_u64_u32 v[26:27], s[0:1], s3, v27, v[24:25]
	v_add_u32_e32 v29, 0x4bf, v70
	v_mad_u64_u32 v[27:28], s[0:1], s2, v29, 0
	v_add_co_u32_e64 v48, s[0:1], v63, v22
	v_mov_b32_e32 v24, v28
	v_addc_co_u32_e64 v49, s[0:1], v71, v23, s[0:1]
	v_lshlrev_b64 v[22:23], 3, v[25:26]
	v_mad_u64_u32 v[24:25], s[0:1], s3, v29, v[24:25]
	v_add_u32_e32 v29, 0x510, v70
	v_mad_u64_u32 v[25:26], s[0:1], s2, v29, 0
	v_add_co_u32_e64 v54, s[0:1], v63, v22
	v_mov_b32_e32 v28, v24
	v_mov_b32_e32 v24, v26
	v_addc_co_u32_e64 v55, s[0:1], v71, v23, s[0:1]
	v_lshlrev_b64 v[22:23], 3, v[27:28]
	v_mad_u64_u32 v[26:27], s[0:1], s3, v29, v[24:25]
	v_add_co_u32_e64 v72, s[0:1], v63, v22
	v_addc_co_u32_e64 v73, s[0:1], v71, v23, s[0:1]
	v_lshlrev_b64 v[22:23], 3, v[25:26]
	v_add_co_u32_e64 v26, s[0:1], v63, v22
	v_addc_co_u32_e64 v27, s[0:1], v71, v23, s[0:1]
	global_load_dwordx2 v[56:57], v[2:3], off
	global_load_dwordx2 v[64:65], v[4:5], off
	;; [unrolled: 1-line block ×15, first 2 shown]
                                        ; kill: killed $vgpr42 killed $vgpr43
                                        ; kill: killed $vgpr16 killed $vgpr17
                                        ; kill: killed $vgpr6 killed $vgpr7
                                        ; kill: killed $vgpr54 killed $vgpr55
                                        ; kill: killed $vgpr20 killed $vgpr21
                                        ; kill: killed $vgpr10 killed $vgpr11
                                        ; kill: killed $vgpr36 killed $vgpr37
                                        ; kill: killed $vgpr14 killed $vgpr15
                                        ; kill: killed $vgpr4 killed $vgpr5
                                        ; kill: killed $vgpr48 killed $vgpr49
                                        ; kill: killed $vgpr18 killed $vgpr19
                                        ; kill: killed $vgpr8 killed $vgpr9
                                        ; kill: killed $vgpr32 killed $vgpr33
                                        ; kill: killed $vgpr12 killed $vgpr13
                                        ; kill: killed $vgpr2 killed $vgpr3
	global_load_dwordx2 v[66:67], v[72:73], off
	global_load_dwordx2 v[68:69], v[26:27], off
	v_cmp_gt_u32_e64 s[0:1], 30, v70
	v_mov_b32_e32 v10, 0
	v_mov_b32_e32 v11, 0
                                        ; implicit-def: $vgpr6
                                        ; implicit-def: $vgpr12
                                        ; implicit-def: $vgpr18
                                        ; implicit-def: $vgpr36
                                        ; implicit-def: $vgpr42
                                        ; implicit-def: $vgpr48
                                        ; implicit-def: $vgpr54
                                        ; implicit-def: $vgpr4
                                        ; implicit-def: $vgpr2
                                        ; implicit-def: $vgpr8
                                        ; implicit-def: $vgpr14
                                        ; implicit-def: $vgpr20
                                        ; implicit-def: $vgpr16
                                        ; implicit-def: $vgpr26
                                        ; implicit-def: $vgpr32
	s_and_saveexec_b64 s[6:7], s[0:1]
	s_cbranch_execz .LBB0_12
; %bb.11:
	v_add_u32_e32 v6, 51, v70
	v_add_u32_e32 v8, 0x84, v70
	v_mad_u64_u32 v[2:3], s[0:1], s2, v6, 0
	v_mad_u64_u32 v[4:5], s[0:1], s2, v8, 0
	v_add_u32_e32 v10, 0x126, v70
	v_add_u32_e32 v11, 0x177, v70
	v_mad_u64_u32 v[6:7], s[0:1], s3, v6, v[3:4]
	v_add_u32_e32 v18, 0x1c8, v70
	v_add_u32_e32 v54, 0x30c, v70
	v_mov_b32_e32 v3, v6
	v_mad_u64_u32 v[5:6], s[0:1], s3, v8, v[5:6]
	v_add_u32_e32 v8, 0xd5, v70
	v_mad_u64_u32 v[6:7], s[0:1], s2, v8, 0
	v_lshlrev_b64 v[2:3], 3, v[2:3]
	v_lshlrev_b64 v[4:5], 3, v[4:5]
	v_add_co_u32_e64 v2, s[0:1], v63, v2
	v_addc_co_u32_e64 v3, s[0:1], v71, v3, s[0:1]
	v_mad_u64_u32 v[7:8], s[0:1], s3, v8, v[7:8]
	v_mad_u64_u32 v[8:9], s[0:1], s2, v10, 0
	v_add_co_u32_e64 v4, s[0:1], v63, v4
	v_lshlrev_b64 v[6:7], 3, v[6:7]
	v_addc_co_u32_e64 v5, s[0:1], v71, v5, s[0:1]
	v_mad_u64_u32 v[9:10], s[0:1], s3, v10, v[9:10]
	v_add_co_u32_e64 v6, s[0:1], v63, v6
	v_addc_co_u32_e64 v7, s[0:1], v71, v7, s[0:1]
	v_mad_u64_u32 v[12:13], s[0:1], s2, v11, 0
	v_lshlrev_b64 v[8:9], 3, v[8:9]
	v_add_u32_e32 v62, 0x450, v70
	v_add_co_u32_e64 v8, s[0:1], v63, v8
	v_mov_b32_e32 v10, v13
	v_addc_co_u32_e64 v9, s[0:1], v71, v9, s[0:1]
	v_mad_u64_u32 v[13:14], s[0:1], s3, v11, v[10:11]
	v_mad_u64_u32 v[14:15], s[0:1], s2, v18, 0
	global_load_dwordx2 v[10:11], v[2:3], off
	global_load_dwordx2 v[32:33], v[4:5], off
	;; [unrolled: 1-line block ×4, first 2 shown]
	v_add_u32_e32 v7, 0x219, v70
	v_mov_b32_e32 v4, v15
	v_mad_u64_u32 v[4:5], s[0:1], s3, v18, v[4:5]
	v_mad_u64_u32 v[5:6], s[0:1], s2, v7, 0
	v_lshlrev_b64 v[2:3], 3, v[12:13]
	v_mov_b32_e32 v15, v4
	v_add_co_u32_e64 v12, s[0:1], v63, v2
	v_mov_b32_e32 v4, v6
	v_addc_co_u32_e64 v13, s[0:1], v71, v3, s[0:1]
	v_mad_u64_u32 v[6:7], s[0:1], s3, v7, v[4:5]
	v_add_u32_e32 v9, 0x26a, v70
	v_mad_u64_u32 v[7:8], s[0:1], s2, v9, 0
	v_lshlrev_b64 v[2:3], 3, v[14:15]
	v_add_co_u32_e64 v18, s[0:1], v63, v2
	v_mov_b32_e32 v4, v8
	v_addc_co_u32_e64 v19, s[0:1], v71, v3, s[0:1]
	v_lshlrev_b64 v[2:3], 3, v[5:6]
	v_mad_u64_u32 v[4:5], s[0:1], s3, v9, v[4:5]
	v_add_co_u32_e64 v5, s[0:1], v63, v2
	v_mov_b32_e32 v8, v4
	v_add_u32_e32 v4, 0x2bb, v70
	v_addc_co_u32_e64 v6, s[0:1], v71, v3, s[0:1]
	v_mad_u64_u32 v[36:37], s[0:1], s2, v4, 0
	v_lshlrev_b64 v[2:3], 3, v[7:8]
	v_add_co_u32_e64 v42, s[0:1], v63, v2
	v_addc_co_u32_e64 v43, s[0:1], v71, v3, s[0:1]
	v_mov_b32_e32 v2, v37
	v_mad_u64_u32 v[48:49], s[0:1], s2, v54, 0
	v_mad_u64_u32 v[7:8], s[0:1], s3, v4, v[2:3]
	global_load_dwordx2 v[20:21], v[12:13], off
	global_load_dwordx2 v[14:15], v[18:19], off
	;; [unrolled: 1-line block ×4, first 2 shown]
	v_mov_b32_e32 v6, v49
	v_mov_b32_e32 v37, v7
	v_mad_u64_u32 v[6:7], s[0:1], s3, v54, v[6:7]
	v_add_u32_e32 v7, 0x35d, v70
	v_mad_u64_u32 v[12:13], s[0:1], s2, v7, 0
	v_lshlrev_b64 v[4:5], 3, v[36:37]
	v_mov_b32_e32 v49, v6
	v_add_co_u32_e64 v36, s[0:1], v63, v4
	v_mov_b32_e32 v6, v13
	v_addc_co_u32_e64 v37, s[0:1], v71, v5, s[0:1]
	v_mad_u64_u32 v[6:7], s[0:1], s3, v7, v[6:7]
	v_add_u32_e32 v7, 0x3ae, v70
	v_mad_u64_u32 v[18:19], s[0:1], s2, v7, 0
	v_lshlrev_b64 v[4:5], 3, v[48:49]
	v_mov_b32_e32 v13, v6
	v_add_co_u32_e64 v42, s[0:1], v63, v4
	v_mov_b32_e32 v6, v19
	v_addc_co_u32_e64 v43, s[0:1], v71, v5, s[0:1]
	v_mad_u64_u32 v[6:7], s[0:1], s3, v7, v[6:7]
	v_lshlrev_b64 v[4:5], 3, v[12:13]
	v_add_co_u32_e64 v48, s[0:1], v63, v4
	v_mov_b32_e32 v19, v6
	v_add_u32_e32 v6, 0x3ff, v70
	v_addc_co_u32_e64 v49, s[0:1], v71, v5, s[0:1]
	v_mad_u64_u32 v[54:55], s[0:1], s2, v6, 0
	v_lshlrev_b64 v[4:5], 3, v[18:19]
	v_add_co_u32_e64 v72, s[0:1], v63, v4
	v_mov_b32_e32 v4, v55
	v_addc_co_u32_e64 v73, s[0:1], v71, v5, s[0:1]
	v_mad_u64_u32 v[74:75], s[0:1], s3, v6, v[4:5]
	v_mad_u64_u32 v[75:76], s[0:1], s2, v62, 0
	global_load_dwordx2 v[4:5], v[36:37], off
	global_load_dwordx2 v[6:7], v[42:43], off
	;; [unrolled: 1-line block ×4, first 2 shown]
	v_mov_b32_e32 v55, v74
	v_mov_b32_e32 v42, v76
	v_mad_u64_u32 v[42:43], s[0:1], s3, v62, v[42:43]
	v_add_u32_e32 v43, 0x4a1, v70
	v_mad_u64_u32 v[48:49], s[0:1], s2, v43, 0
	v_lshlrev_b64 v[36:37], 3, v[54:55]
	v_mov_b32_e32 v76, v42
	v_add_co_u32_e64 v72, s[0:1], v63, v36
	v_mov_b32_e32 v42, v49
	v_addc_co_u32_e64 v73, s[0:1], v71, v37, s[0:1]
	v_mad_u64_u32 v[42:43], s[0:1], s3, v43, v[42:43]
	v_add_u32_e32 v43, 0x4f2, v70
	v_mad_u64_u32 v[54:55], s[0:1], s2, v43, 0
	v_lshlrev_b64 v[36:37], 3, v[75:76]
	v_mov_b32_e32 v49, v42
	v_add_co_u32_e64 v74, s[0:1], v63, v36
	v_mov_b32_e32 v42, v55
	v_addc_co_u32_e64 v75, s[0:1], v71, v37, s[0:1]
	v_mad_u64_u32 v[42:43], s[0:1], s3, v43, v[42:43]
	v_lshlrev_b64 v[36:37], 3, v[48:49]
	v_add_co_u32_e64 v76, s[0:1], v63, v36
	v_mov_b32_e32 v55, v42
	v_add_u32_e32 v42, 0x543, v70
	v_addc_co_u32_e64 v77, s[0:1], v71, v37, s[0:1]
	v_mad_u64_u32 v[78:79], s[0:1], s2, v42, 0
	v_lshlrev_b64 v[36:37], 3, v[54:55]
	v_add_co_u32_e64 v80, s[0:1], v63, v36
	v_mov_b32_e32 v36, v79
	v_addc_co_u32_e64 v81, s[0:1], v71, v37, s[0:1]
	v_mad_u64_u32 v[82:83], s[0:1], s3, v42, v[36:37]
	global_load_dwordx2 v[36:37], v[72:73], off
	global_load_dwordx2 v[42:43], v[74:75], off
	;; [unrolled: 1-line block ×4, first 2 shown]
	v_mov_b32_e32 v79, v82
	v_lshlrev_b64 v[72:73], 3, v[78:79]
	v_add_co_u32_e64 v62, s[0:1], v63, v72
	v_addc_co_u32_e64 v63, s[0:1], v71, v73, s[0:1]
	global_load_dwordx2 v[62:63], v[62:63], off
.LBB0_12:
	s_or_b64 exec, exec, s[6:7]
.LBB0_13:
	s_or_b64 exec, exec, s[4:5]
	s_waitcnt vmcnt(15)
	v_add_f32_e32 v71, v56, v64
	s_waitcnt vmcnt(14)
	v_add_f32_e32 v71, v71, v58
	;; [unrolled: 2-line block ×14, first 2 shown]
	s_waitcnt vmcnt(0)
	v_sub_f32_e32 v73, v65, v69
	v_add_f32_e32 v71, v66, v71
	v_mul_f32_e32 v74, 0xbeb8f4ab, v73
	v_mul_f32_e32 v76, 0xbf2c7751, v73
	;; [unrolled: 1-line block ×8, first 2 shown]
	v_add_f32_e32 v72, v68, v71
	v_add_f32_e32 v71, v68, v64
	s_mov_b32 s14, 0x3f6eb680
	v_mov_b32_e32 v75, v74
	s_mov_b32 s10, 0x3f3d2fb0
	v_mov_b32_e32 v77, v76
	;; [unrolled: 2-line block ×8, first 2 shown]
	v_fmac_f32_e32 v75, 0x3f6eb680, v71
	v_fma_f32 v74, v71, s14, -v74
	v_fmac_f32_e32 v77, 0x3f3d2fb0, v71
	v_fma_f32 v76, v71, s10, -v76
	;; [unrolled: 2-line block ×8, first 2 shown]
	v_sub_f32_e32 v73, v59, v67
	v_add_f32_e32 v75, v75, v56
	v_add_f32_e32 v74, v74, v56
	;; [unrolled: 1-line block ×17, first 2 shown]
	v_mul_f32_e32 v89, 0xbf2c7751, v73
	v_mov_b32_e32 v90, v89
	v_fma_f32 v89, v71, s10, -v89
	v_fmac_f32_e32 v90, 0x3f3d2fb0, v71
	v_add_f32_e32 v74, v74, v89
	v_mul_f32_e32 v89, 0xbf7ee86f, v73
	v_add_f32_e32 v75, v75, v90
	v_mov_b32_e32 v90, v89
	v_fma_f32 v89, v71, s6, -v89
	v_fmac_f32_e32 v90, 0x3dbcf732, v71
	v_add_f32_e32 v76, v76, v89
	v_mul_f32_e32 v89, 0xbf4c4adb, v73
	v_add_f32_e32 v77, v77, v90
	v_mov_b32_e32 v90, v89
	v_fma_f32 v89, v71, s15, -v89
	v_fmac_f32_e32 v90, 0xbf1a4643, v71
	v_add_f32_e32 v78, v78, v89
	v_mul_f32_e32 v89, 0xbe3c28d5, v73
	v_add_f32_e32 v79, v79, v90
	v_mov_b32_e32 v90, v89
	v_fma_f32 v89, v71, s17, -v89
	v_fmac_f32_e32 v90, 0xbf7ba420, v71
	v_add_f32_e32 v80, v80, v89
	v_mul_f32_e32 v89, 0x3f06c442, v73
	v_add_f32_e32 v81, v81, v90
	v_mov_b32_e32 v90, v89
	v_fma_f32 v89, v71, s16, -v89
	v_fmac_f32_e32 v90, 0xbf59a7d5, v71
	v_add_f32_e32 v82, v82, v89
	v_mul_f32_e32 v89, 0x3f763a35, v73
	v_add_f32_e32 v83, v83, v90
	v_mov_b32_e32 v90, v89
	v_fma_f32 v89, v71, s11, -v89
	v_fmac_f32_e32 v90, 0xbe8c1d8e, v71
	v_add_f32_e32 v84, v84, v89
	v_mul_f32_e32 v89, 0x3f65296c, v73
	v_add_f32_e32 v85, v85, v90
	v_mov_b32_e32 v90, v89
	v_fma_f32 v89, v71, s7, -v89
	v_mul_f32_e32 v73, 0x3eb8f4ab, v73
	v_add_f32_e32 v86, v86, v89
	v_mov_b32_e32 v89, v73
	v_fmac_f32_e32 v90, 0x3ee437d1, v71
	v_fmac_f32_e32 v89, 0x3f6eb680, v71
	v_fma_f32 v71, v71, s14, -v73
	v_sub_f32_e32 v73, v53, v61
	v_add_f32_e32 v88, v88, v89
	v_add_f32_e32 v56, v56, v71
	v_add_f32_e32 v71, v60, v52
	v_mul_f32_e32 v89, 0xbf65296c, v73
	v_add_f32_e32 v87, v87, v90
	v_mov_b32_e32 v90, v89
	v_fma_f32 v89, v71, s7, -v89
	v_fmac_f32_e32 v90, 0x3ee437d1, v71
	v_add_f32_e32 v74, v74, v89
	v_mul_f32_e32 v89, 0xbf4c4adb, v73
	v_add_f32_e32 v75, v75, v90
	v_mov_b32_e32 v90, v89
	v_fma_f32 v89, v71, s15, -v89
	v_fmac_f32_e32 v90, 0xbf1a4643, v71
	v_add_f32_e32 v76, v76, v89
	v_mul_f32_e32 v89, 0x3e3c28d5, v73
	v_add_f32_e32 v77, v77, v90
	v_mov_b32_e32 v90, v89
	v_fma_f32 v89, v71, s17, -v89
	v_fmac_f32_e32 v90, 0xbf7ba420, v71
	v_add_f32_e32 v78, v78, v89
	v_mul_f32_e32 v89, 0x3f763a35, v73
	v_add_f32_e32 v79, v79, v90
	v_mov_b32_e32 v90, v89
	v_fma_f32 v89, v71, s11, -v89
	v_fmac_f32_e32 v90, 0xbe8c1d8e, v71
	v_add_f32_e32 v80, v80, v89
	v_mul_f32_e32 v89, 0x3f2c7751, v73
	v_add_f32_e32 v81, v81, v90
	v_mov_b32_e32 v90, v89
	v_fma_f32 v89, v71, s10, -v89
	v_fmac_f32_e32 v90, 0x3f3d2fb0, v71
	v_add_f32_e32 v82, v82, v89
	v_mul_f32_e32 v89, 0xbeb8f4ab, v73
	v_add_f32_e32 v83, v83, v90
	v_mov_b32_e32 v90, v89
	v_fma_f32 v89, v71, s14, -v89
	v_fmac_f32_e32 v90, 0x3f6eb680, v71
	v_add_f32_e32 v84, v84, v89
	v_mul_f32_e32 v89, 0xbf7ee86f, v73
	v_add_f32_e32 v85, v85, v90
	v_mov_b32_e32 v90, v89
	v_fma_f32 v89, v71, s6, -v89
	v_mul_f32_e32 v73, 0xbf06c442, v73
	v_add_f32_e32 v86, v86, v89
	v_mov_b32_e32 v89, v73
	v_fmac_f32_e32 v90, 0x3dbcf732, v71
	v_fmac_f32_e32 v89, 0xbf59a7d5, v71
	v_fma_f32 v71, v71, s16, -v73
	v_sub_f32_e32 v73, v47, v51
	v_add_f32_e32 v88, v88, v89
	v_add_f32_e32 v56, v56, v71
	v_add_f32_e32 v71, v46, v50
	v_mul_f32_e32 v89, 0xbf7ee86f, v73
	v_add_f32_e32 v87, v87, v90
	;; [unrolled: 50-line block ×6, first 2 shown]
	v_mov_b32_e32 v90, v89
	v_fma_f32 v89, v71, s17, -v89
	v_fmac_f32_e32 v90, 0xbf7ba420, v71
	v_add_f32_e32 v74, v89, v74
	v_mul_f32_e32 v89, 0x3eb8f4ab, v73
	v_add_f32_e32 v75, v90, v75
	v_mov_b32_e32 v90, v89
	v_fma_f32 v89, v71, s14, -v89
	v_fmac_f32_e32 v90, 0x3f6eb680, v71
	v_add_f32_e32 v76, v89, v76
	v_mul_f32_e32 v89, 0xbf06c442, v73
	v_add_f32_e32 v77, v90, v77
	v_mov_b32_e32 v90, v89
	v_fma_f32 v89, v71, s16, -v89
	v_fmac_f32_e32 v90, 0xbf59a7d5, v71
	v_add_f32_e32 v78, v89, v78
	v_mul_f32_e32 v89, 0x3f2c7751, v73
	v_add_f32_e32 v79, v90, v79
	v_mov_b32_e32 v90, v89
	v_fma_f32 v89, v71, s10, -v89
	v_fmac_f32_e32 v90, 0x3f3d2fb0, v71
	v_add_f32_e32 v80, v89, v80
	v_mul_f32_e32 v89, 0xbf4c4adb, v73
	v_add_f32_e32 v81, v90, v81
	v_mov_b32_e32 v90, v89
	v_fma_f32 v89, v71, s15, -v89
	v_fmac_f32_e32 v90, 0xbf1a4643, v71
	v_add_f32_e32 v82, v89, v82
	v_mul_f32_e32 v89, 0x3f65296c, v73
	v_add_f32_e32 v83, v90, v83
	v_mov_b32_e32 v90, v89
	v_fma_f32 v89, v71, s7, -v89
	v_fmac_f32_e32 v90, 0x3ee437d1, v71
	v_add_f32_e32 v84, v89, v84
	v_mul_f32_e32 v89, 0xbf763a35, v73
	v_add_f32_e32 v85, v90, v85
	v_mov_b32_e32 v90, v89
	v_fma_f32 v89, v71, s11, -v89
	v_mul_f32_e32 v73, 0x3f7ee86f, v73
	v_add_f32_e32 v86, v89, v86
	v_mov_b32_e32 v89, v73
	v_fmac_f32_e32 v90, 0xbe8c1d8e, v71
	v_fmac_f32_e32 v89, 0x3dbcf732, v71
	v_fma_f32 v71, v71, s6, -v73
	s_movk_i32 s0, 0x44
	v_add_f32_e32 v56, v71, v56
	v_mad_u32_u24 v71, v70, s0, 0
	v_cmp_gt_u32_e64 s[0:1], 30, v70
	v_add_f32_e32 v87, v90, v87
	v_add_f32_e32 v88, v89, v88
	ds_write2_b32 v71, v72, v75 offset1:1
	ds_write2_b32 v71, v77, v79 offset0:2 offset1:3
	ds_write2_b32 v71, v81, v83 offset0:4 offset1:5
	;; [unrolled: 1-line block ×7, first 2 shown]
	ds_write_b32 v71, v74 offset:64
	s_and_saveexec_b64 s[4:5], s[0:1]
	s_cbranch_execz .LBB0_15
; %bb.14:
	v_add_f32_e32 v56, v32, v62
	v_mul_f32_e32 v72, 0xbf7ba420, v56
	v_add_f32_e32 v75, v26, v54
	v_sub_f32_e32 v73, v33, v63
	v_mov_b32_e32 v74, v72
	v_mul_f32_e32 v76, 0x3f6eb680, v75
	v_fmac_f32_e32 v74, 0x3e3c28d5, v73
	v_sub_f32_e32 v77, v27, v55
	v_mov_b32_e32 v78, v76
	v_add_f32_e32 v74, v10, v74
	v_fmac_f32_e32 v78, 0xbeb8f4ab, v77
	v_add_f32_e32 v74, v74, v78
	v_add_f32_e32 v78, v16, v48
	v_mul_f32_e32 v79, 0xbf59a7d5, v78
	v_sub_f32_e32 v80, v17, v49
	v_mov_b32_e32 v81, v79
	v_fmac_f32_e32 v81, 0x3f06c442, v80
	v_add_f32_e32 v74, v74, v81
	v_add_f32_e32 v81, v20, v42
	v_mul_f32_e32 v82, 0x3f3d2fb0, v81
	v_sub_f32_e32 v83, v21, v43
	v_mov_b32_e32 v84, v82
	v_fmac_f32_e32 v84, 0xbf2c7751, v83
	v_add_f32_e32 v74, v74, v84
	v_add_f32_e32 v84, v14, v36
	v_mul_f32_e32 v85, 0xbf1a4643, v84
	v_fmac_f32_e32 v72, 0xbe3c28d5, v73
	v_sub_f32_e32 v86, v15, v37
	v_mov_b32_e32 v87, v85
	v_add_f32_e32 v72, v10, v72
	v_fmac_f32_e32 v76, 0x3eb8f4ab, v77
	v_fmac_f32_e32 v87, 0x3f4c4adb, v86
	v_add_f32_e32 v72, v72, v76
	v_fmac_f32_e32 v79, 0xbf06c442, v80
	v_add_f32_e32 v74, v74, v87
	v_add_f32_e32 v87, v8, v18
	;; [unrolled: 1-line block ×3, first 2 shown]
	v_fmac_f32_e32 v82, 0x3f2c7751, v83
	v_mul_f32_e32 v76, 0xbf59a7d5, v56
	v_mul_f32_e32 v88, 0x3ee437d1, v87
	v_add_f32_e32 v72, v72, v82
	v_fmac_f32_e32 v85, 0xbf4c4adb, v86
	v_mov_b32_e32 v79, v76
	v_mul_f32_e32 v82, 0x3ee437d1, v75
	v_sub_f32_e32 v89, v9, v19
	v_mov_b32_e32 v90, v88
	v_add_f32_e32 v72, v72, v85
	v_fmac_f32_e32 v79, 0x3f06c442, v73
	v_mov_b32_e32 v85, v82
	v_fmac_f32_e32 v90, 0xbf65296c, v89
	v_add_f32_e32 v79, v10, v79
	v_fmac_f32_e32 v85, 0xbf65296c, v77
	v_add_f32_e32 v74, v74, v90
	v_add_f32_e32 v90, v2, v12
	v_fmac_f32_e32 v88, 0x3f65296c, v89
	v_add_f32_e32 v79, v79, v85
	v_mul_f32_e32 v85, 0x3dbcf732, v78
	v_mul_f32_e32 v91, 0xbe8c1d8e, v90
	v_add_f32_e32 v72, v72, v88
	v_mov_b32_e32 v88, v85
	v_sub_f32_e32 v92, v3, v13
	v_mov_b32_e32 v93, v91
	v_fmac_f32_e32 v88, 0x3f7ee86f, v80
	v_fmac_f32_e32 v93, 0x3f763a35, v92
	v_fmac_f32_e32 v91, 0xbf763a35, v92
	v_add_f32_e32 v79, v79, v88
	v_mul_f32_e32 v88, 0xbf1a4643, v81
	v_fmac_f32_e32 v76, 0xbf06c442, v73
	v_add_f32_e32 v74, v74, v93
	v_add_f32_e32 v93, v4, v6
	;; [unrolled: 1-line block ×3, first 2 shown]
	v_mov_b32_e32 v91, v88
	v_add_f32_e32 v76, v10, v76
	v_fmac_f32_e32 v82, 0x3f65296c, v77
	v_mul_f32_e32 v94, 0x3dbcf732, v93
	v_sub_f32_e32 v95, v5, v7
	v_fmac_f32_e32 v91, 0xbf4c4adb, v83
	v_add_f32_e32 v76, v76, v82
	v_fmac_f32_e32 v85, 0xbf7ee86f, v80
	v_mov_b32_e32 v96, v94
	v_fmac_f32_e32 v94, 0x3f7ee86f, v95
	v_add_f32_e32 v79, v79, v91
	v_mul_f32_e32 v91, 0x3f6eb680, v84
	v_add_f32_e32 v76, v76, v85
	v_fmac_f32_e32 v88, 0x3f4c4adb, v83
	v_mul_f32_e32 v82, 0xbf1a4643, v56
	v_add_f32_e32 v72, v72, v94
	v_mov_b32_e32 v94, v91
	v_add_f32_e32 v76, v76, v88
	v_fmac_f32_e32 v91, 0xbeb8f4ab, v86
	v_mov_b32_e32 v85, v82
	v_mul_f32_e32 v88, 0xbe8c1d8e, v75
	v_fmac_f32_e32 v94, 0x3eb8f4ab, v86
	v_add_f32_e32 v76, v76, v91
	v_fmac_f32_e32 v85, 0x3f4c4adb, v73
	v_mov_b32_e32 v91, v88
	v_fmac_f32_e32 v96, 0xbf7ee86f, v95
	v_add_f32_e32 v79, v79, v94
	v_mul_f32_e32 v94, 0xbf7ba420, v87
	v_add_f32_e32 v85, v10, v85
	v_fmac_f32_e32 v91, 0xbf763a35, v77
	v_add_f32_e32 v74, v74, v96
	v_mov_b32_e32 v96, v94
	v_fmac_f32_e32 v94, 0xbe3c28d5, v89
	v_add_f32_e32 v85, v85, v91
	v_mul_f32_e32 v91, 0x3f6eb680, v78
	v_fmac_f32_e32 v96, 0x3e3c28d5, v89
	v_add_f32_e32 v76, v76, v94
	v_mov_b32_e32 v94, v91
	v_add_f32_e32 v79, v79, v96
	v_mul_f32_e32 v96, 0x3f3d2fb0, v90
	v_fmac_f32_e32 v94, 0x3eb8f4ab, v80
	v_mov_b32_e32 v97, v96
	v_fmac_f32_e32 v96, 0x3f2c7751, v92
	v_add_f32_e32 v85, v85, v94
	v_mul_f32_e32 v94, 0xbf59a7d5, v81
	v_fmac_f32_e32 v82, 0xbf4c4adb, v73
	v_fmac_f32_e32 v97, 0xbf2c7751, v92
	v_add_f32_e32 v76, v76, v96
	v_mov_b32_e32 v96, v94
	v_add_f32_e32 v82, v10, v82
	v_fmac_f32_e32 v88, 0x3f763a35, v77
	v_add_f32_e32 v79, v79, v97
	v_mul_f32_e32 v97, 0xbe8c1d8e, v93
	v_fmac_f32_e32 v96, 0x3f06c442, v83
	v_add_f32_e32 v82, v82, v88
	v_fmac_f32_e32 v91, 0xbeb8f4ab, v80
	v_mov_b32_e32 v98, v97
	v_fmac_f32_e32 v97, 0xbf763a35, v95
	v_add_f32_e32 v85, v85, v96
	v_mul_f32_e32 v96, 0x3dbcf732, v84
	v_add_f32_e32 v82, v82, v91
	v_fmac_f32_e32 v94, 0xbf06c442, v83
	v_mul_f32_e32 v88, 0xbe8c1d8e, v56
	v_add_f32_e32 v76, v76, v97
	v_mov_b32_e32 v97, v96
	v_add_f32_e32 v82, v82, v94
	v_fmac_f32_e32 v96, 0x3f7ee86f, v86
	v_mov_b32_e32 v91, v88
	v_mul_f32_e32 v94, 0xbf59a7d5, v75
	v_fmac_f32_e32 v97, 0xbf7ee86f, v86
	v_add_f32_e32 v82, v82, v96
	v_fmac_f32_e32 v91, 0x3f763a35, v73
	v_mov_b32_e32 v96, v94
	v_fmac_f32_e32 v98, 0x3f763a35, v95
	v_add_f32_e32 v85, v85, v97
	v_mul_f32_e32 v97, 0x3f3d2fb0, v87
	v_add_f32_e32 v91, v10, v91
	v_fmac_f32_e32 v96, 0xbf06c442, v77
	v_add_f32_e32 v79, v79, v98
	v_mov_b32_e32 v98, v97
	v_fmac_f32_e32 v97, 0xbf2c7751, v89
	v_add_f32_e32 v91, v91, v96
	v_mul_f32_e32 v96, 0x3f3d2fb0, v78
	v_fmac_f32_e32 v98, 0x3f2c7751, v89
	v_add_f32_e32 v82, v82, v97
	v_mov_b32_e32 v97, v96
	v_add_f32_e32 v85, v85, v98
	v_mul_f32_e32 v98, 0xbf7ba420, v90
	v_fmac_f32_e32 v97, 0xbf2c7751, v80
	v_mov_b32_e32 v99, v98
	v_fmac_f32_e32 v98, 0xbe3c28d5, v92
	v_add_f32_e32 v91, v91, v97
	v_mul_f32_e32 v97, 0x3ee437d1, v81
	v_fmac_f32_e32 v88, 0xbf763a35, v73
	v_fmac_f32_e32 v99, 0x3e3c28d5, v92
	v_add_f32_e32 v82, v82, v98
	v_mov_b32_e32 v98, v97
	v_add_f32_e32 v88, v10, v88
	v_fmac_f32_e32 v94, 0x3f06c442, v77
	v_add_f32_e32 v85, v85, v99
	v_mul_f32_e32 v99, 0x3ee437d1, v93
	;; [unrolled: 48-line block ×4, first 2 shown]
	v_fmac_f32_e32 v102, 0xbf763a35, v83
	v_add_f32_e32 v97, v97, v99
	v_fmac_f32_e32 v100, 0x3e3c28d5, v80
	v_mov_b32_e32 v104, v103
	v_fmac_f32_e32 v103, 0x3f2c7751, v95
	v_add_f32_e32 v98, v98, v102
	v_mul_f32_e32 v102, 0x3f3d2fb0, v84
	v_add_f32_e32 v97, v97, v100
	v_fmac_f32_e32 v101, 0x3f763a35, v83
	v_mul_f32_e32 v99, 0x3f3d2fb0, v56
	v_add_f32_e32 v94, v94, v103
	v_mov_b32_e32 v103, v102
	v_add_f32_e32 v97, v97, v101
	v_fmac_f32_e32 v102, 0x3f2c7751, v86
	v_mov_b32_e32 v100, v99
	v_mul_f32_e32 v101, 0x3dbcf732, v75
	v_fmac_f32_e32 v103, 0xbf2c7751, v86
	v_add_f32_e32 v97, v97, v102
	v_fmac_f32_e32 v100, 0x3f2c7751, v73
	v_mov_b32_e32 v102, v101
	v_fmac_f32_e32 v99, 0xbf2c7751, v73
	v_fmac_f32_e32 v104, 0xbf2c7751, v95
	v_add_f32_e32 v98, v98, v103
	v_mul_f32_e32 v103, 0x3f6eb680, v87
	v_add_f32_e32 v100, v10, v100
	v_fmac_f32_e32 v102, 0x3f7ee86f, v77
	v_add_f32_e32 v99, v10, v99
	v_fmac_f32_e32 v101, 0xbf7ee86f, v77
	v_mul_f32_e32 v56, 0x3f6eb680, v56
	v_add_f32_e32 v96, v96, v104
	v_mov_b32_e32 v104, v103
	v_fmac_f32_e32 v103, 0xbeb8f4ab, v89
	v_add_f32_e32 v100, v100, v102
	v_mul_f32_e32 v102, 0xbf1a4643, v78
	v_add_f32_e32 v99, v99, v101
	v_mov_b32_e32 v101, v56
	v_fmac_f32_e32 v104, 0x3eb8f4ab, v89
	v_add_f32_e32 v97, v97, v103
	v_mov_b32_e32 v103, v102
	v_fmac_f32_e32 v101, 0x3eb8f4ab, v73
	v_fmac_f32_e32 v56, 0xbeb8f4ab, v73
	v_add_f32_e32 v98, v98, v104
	v_mul_f32_e32 v104, 0x3dbcf732, v90
	v_fmac_f32_e32 v103, 0x3f4c4adb, v80
	v_add_f32_e32 v101, v10, v101
	v_add_f32_e32 v56, v10, v56
	;; [unrolled: 1-line block ×3, first 2 shown]
	v_mov_b32_e32 v105, v104
	v_fmac_f32_e32 v104, 0xbf7ee86f, v92
	v_add_f32_e32 v100, v100, v103
	v_mul_f32_e32 v103, 0xbf7ba420, v81
	v_fmac_f32_e32 v102, 0xbf4c4adb, v80
	v_mul_f32_e32 v75, 0x3f3d2fb0, v75
	v_add_f32_e32 v10, v10, v26
	v_fmac_f32_e32 v105, 0x3f7ee86f, v92
	v_add_f32_e32 v97, v97, v104
	v_mov_b32_e32 v104, v103
	v_add_f32_e32 v99, v99, v102
	v_mov_b32_e32 v102, v75
	v_add_f32_e32 v10, v10, v16
	v_add_f32_e32 v98, v98, v105
	v_mul_f32_e32 v105, 0xbf59a7d5, v93
	v_fmac_f32_e32 v104, 0x3e3c28d5, v83
	v_fmac_f32_e32 v102, 0x3f2c7751, v77
	v_mul_f32_e32 v78, 0x3ee437d1, v78
	v_add_f32_e32 v10, v10, v20
	v_mov_b32_e32 v106, v105
	v_fmac_f32_e32 v105, 0xbf06c442, v95
	v_add_f32_e32 v100, v100, v104
	v_mul_f32_e32 v104, 0xbf59a7d5, v84
	v_add_f32_e32 v101, v101, v102
	v_mov_b32_e32 v102, v78
	v_add_f32_e32 v10, v10, v14
	v_add_f32_e32 v97, v97, v105
	v_mov_b32_e32 v105, v104
	v_fmac_f32_e32 v102, 0x3f65296c, v80
	v_mul_f32_e32 v81, 0x3dbcf732, v81
	v_add_f32_e32 v10, v10, v8
	v_fmac_f32_e32 v105, 0xbf06c442, v86
	v_add_f32_e32 v101, v101, v102
	v_mov_b32_e32 v102, v81
	v_add_f32_e32 v10, v10, v2
	v_fmac_f32_e32 v106, 0x3f06c442, v95
	v_add_f32_e32 v100, v100, v105
	v_mul_f32_e32 v105, 0xbe8c1d8e, v87
	v_fmac_f32_e32 v102, 0x3f7ee86f, v83
	v_mul_f32_e32 v84, 0xbe8c1d8e, v84
	v_add_f32_e32 v10, v10, v4
	v_add_f32_e32 v98, v98, v106
	v_mov_b32_e32 v106, v105
	v_add_f32_e32 v101, v101, v102
	v_mov_b32_e32 v102, v84
	v_fmac_f32_e32 v75, 0xbf2c7751, v77
	v_add_f32_e32 v10, v10, v6
	v_fmac_f32_e32 v106, 0xbf763a35, v89
	v_fmac_f32_e32 v102, 0x3f763a35, v86
	v_mul_f32_e32 v87, 0xbf1a4643, v87
	v_add_f32_e32 v56, v56, v75
	v_fmac_f32_e32 v78, 0xbf65296c, v80
	v_add_f32_e32 v10, v12, v10
	v_add_f32_e32 v100, v100, v106
	v_mul_f32_e32 v106, 0x3ee437d1, v90
	v_add_f32_e32 v101, v101, v102
	v_mov_b32_e32 v102, v87
	v_add_f32_e32 v56, v56, v78
	v_fmac_f32_e32 v81, 0xbf7ee86f, v83
	v_add_f32_e32 v10, v18, v10
	v_mov_b32_e32 v107, v106
	v_fmac_f32_e32 v103, 0xbe3c28d5, v83
	v_fmac_f32_e32 v102, 0x3f4c4adb, v89
	v_mul_f32_e32 v90, 0xbf59a7d5, v90
	v_add_f32_e32 v56, v56, v81
	v_fmac_f32_e32 v84, 0xbf763a35, v86
	v_add_f32_e32 v10, v36, v10
	v_fmac_f32_e32 v107, 0xbf65296c, v92
	v_add_f32_e32 v99, v99, v103
	v_fmac_f32_e32 v104, 0x3f06c442, v86
	v_add_f32_e32 v101, v101, v102
	v_mov_b32_e32 v102, v90
	v_add_f32_e32 v56, v56, v84
	v_fmac_f32_e32 v87, 0xbf4c4adb, v89
	v_add_f32_e32 v10, v42, v10
	v_add_f32_e32 v100, v100, v107
	v_mul_f32_e32 v107, 0x3f6eb680, v93
	v_add_f32_e32 v99, v99, v104
	v_fmac_f32_e32 v105, 0x3f763a35, v89
	v_fmac_f32_e32 v102, 0x3f06c442, v92
	v_mul_f32_e32 v93, 0xbf7ba420, v93
	v_add_f32_e32 v56, v56, v87
	v_fmac_f32_e32 v90, 0xbf06c442, v92
	v_add_f32_e32 v10, v48, v10
	v_add_f32_e32 v99, v99, v105
	v_fmac_f32_e32 v106, 0x3f65296c, v92
	v_add_f32_e32 v101, v101, v102
	v_mov_b32_e32 v102, v93
	v_add_f32_e32 v56, v56, v90
	v_fmac_f32_e32 v93, 0xbe3c28d5, v95
	v_add_f32_e32 v10, v54, v10
	v_mov_b32_e32 v108, v107
	v_add_f32_e32 v99, v99, v106
	v_fmac_f32_e32 v107, 0x3eb8f4ab, v95
	v_add_f32_e32 v56, v56, v93
	v_add_f32_e32 v10, v62, v10
	v_add_u32_e32 v73, 0xd8c, v71
	v_add_f32_e32 v99, v99, v107
	ds_write2_b32 v73, v10, v56 offset1:1
	v_add_u32_e32 v10, 0xd94, v71
	ds_write2_b32 v10, v99, v97 offset1:1
	v_add_u32_e32 v10, 0xd9c, v71
	;; [unrolled: 2-line block ×5, first 2 shown]
	v_fmac_f32_e32 v108, 0xbeb8f4ab, v95
	ds_write2_b32 v10, v79, v85 offset1:1
	v_add_u32_e32 v10, 0xdbc, v71
	v_add_f32_e32 v100, v100, v108
	v_fmac_f32_e32 v102, 0x3e3c28d5, v95
	ds_write2_b32 v10, v91, v96 offset1:1
	v_add_u32_e32 v10, 0xdc4, v71
	v_add_f32_e32 v101, v101, v102
	ds_write2_b32 v10, v98, v100 offset1:1
	ds_write_b32 v71, v101 offset:3532
.LBB0_15:
	s_or_b64 exec, exec, s[4:5]
	v_add_f32_e32 v10, v57, v65
	v_add_f32_e32 v10, v10, v59
	;; [unrolled: 1-line block ×15, first 2 shown]
	v_sub_f32_e32 v56, v64, v68
	v_add_f32_e32 v73, v69, v10
	v_add_f32_e32 v10, v69, v65
	v_mul_f32_e32 v64, 0xbeb8f4ab, v56
	v_mul_f32_e32 v68, 0xbf2c7751, v56
	;; [unrolled: 1-line block ×8, first 2 shown]
	v_fma_f32 v65, v10, s14, -v64
	v_fmac_f32_e32 v64, 0x3f6eb680, v10
	v_fma_f32 v69, v10, s10, -v68
	v_fmac_f32_e32 v68, 0x3f3d2fb0, v10
	;; [unrolled: 2-line block ×8, first 2 shown]
	v_add_f32_e32 v65, v65, v57
	v_add_f32_e32 v64, v64, v57
	;; [unrolled: 1-line block ×16, first 2 shown]
	v_sub_f32_e32 v57, v58, v66
	v_add_f32_e32 v56, v67, v59
	v_mul_f32_e32 v58, 0xbf2c7751, v57
	v_fma_f32 v59, v56, s10, -v58
	v_fmac_f32_e32 v58, 0x3f3d2fb0, v56
	v_add_f32_e32 v58, v64, v58
	v_mul_f32_e32 v64, 0xbf7ee86f, v57
	v_add_f32_e32 v59, v65, v59
	v_fma_f32 v65, v56, s6, -v64
	v_fmac_f32_e32 v64, 0x3dbcf732, v56
	v_mul_f32_e32 v66, 0xbf4c4adb, v57
	v_add_f32_e32 v64, v68, v64
	v_fma_f32 v67, v56, s15, -v66
	v_fmac_f32_e32 v66, 0xbf1a4643, v56
	v_mul_f32_e32 v68, 0xbe3c28d5, v57
	v_add_f32_e32 v65, v69, v65
	v_add_f32_e32 v66, v72, v66
	v_fma_f32 v69, v56, s17, -v68
	v_fmac_f32_e32 v68, 0xbf7ba420, v56
	v_mul_f32_e32 v72, 0x3f06c442, v57
	v_add_f32_e32 v67, v74, v67
	;; [unrolled: 5-line block ×3, first 2 shown]
	v_add_f32_e32 v72, v77, v72
	v_fma_f32 v76, v56, s11, -v75
	v_fmac_f32_e32 v75, 0xbe8c1d8e, v56
	v_mul_f32_e32 v77, 0x3f65296c, v57
	v_mul_f32_e32 v57, 0x3eb8f4ab, v57
	v_sub_f32_e32 v52, v52, v60
	v_add_f32_e32 v74, v78, v74
	v_add_f32_e32 v75, v79, v75
	v_fma_f32 v78, v56, s7, -v77
	v_fmac_f32_e32 v77, 0x3ee437d1, v56
	v_fma_f32 v79, v56, s14, -v57
	v_fmac_f32_e32 v57, 0x3f6eb680, v56
	v_add_f32_e32 v53, v61, v53
	v_mul_f32_e32 v56, 0xbf65296c, v52
	v_add_f32_e32 v10, v10, v57
	v_fma_f32 v57, v53, s7, -v56
	v_fmac_f32_e32 v56, 0x3ee437d1, v53
	v_add_f32_e32 v56, v58, v56
	v_mul_f32_e32 v58, 0xbf4c4adb, v52
	v_add_f32_e32 v57, v59, v57
	v_fma_f32 v59, v53, s15, -v58
	v_fmac_f32_e32 v58, 0xbf1a4643, v53
	v_mul_f32_e32 v60, 0x3e3c28d5, v52
	v_add_f32_e32 v58, v64, v58
	v_fma_f32 v61, v53, s17, -v60
	v_fmac_f32_e32 v60, 0xbf7ba420, v53
	v_mul_f32_e32 v64, 0x3f763a35, v52
	v_add_f32_e32 v59, v65, v59
	v_add_f32_e32 v60, v66, v60
	v_fma_f32 v65, v53, s11, -v64
	v_fmac_f32_e32 v64, 0xbe8c1d8e, v53
	v_mul_f32_e32 v66, 0x3f2c7751, v52
	v_add_f32_e32 v61, v67, v61
	v_add_f32_e32 v64, v68, v64
	v_fma_f32 v67, v53, s10, -v66
	v_fmac_f32_e32 v66, 0x3f3d2fb0, v53
	v_mul_f32_e32 v68, 0xbeb8f4ab, v52
	v_add_f32_e32 v65, v69, v65
	v_add_f32_e32 v66, v72, v66
	v_fma_f32 v69, v53, s14, -v68
	v_fmac_f32_e32 v68, 0x3f6eb680, v53
	v_mul_f32_e32 v72, 0xbf7ee86f, v52
	v_mul_f32_e32 v52, 0xbf06c442, v52
	v_sub_f32_e32 v46, v46, v50
	v_add_f32_e32 v68, v75, v68
	v_fma_f32 v75, v53, s16, -v52
	v_fmac_f32_e32 v52, 0xbf59a7d5, v53
	v_add_f32_e32 v47, v47, v51
	v_mul_f32_e32 v50, 0xbf7ee86f, v46
	v_add_f32_e32 v10, v10, v52
	v_fma_f32 v51, v47, s6, -v50
	v_fmac_f32_e32 v50, 0x3dbcf732, v47
	v_mul_f32_e32 v52, 0xbe3c28d5, v46
	v_add_f32_e32 v67, v74, v67
	v_fma_f32 v74, v53, s6, -v72
	v_fmac_f32_e32 v72, 0x3dbcf732, v53
	v_add_f32_e32 v50, v50, v56
	v_fma_f32 v53, v47, s17, -v52
	v_fmac_f32_e32 v52, 0xbf7ba420, v47
	v_mul_f32_e32 v56, 0x3f763a35, v46
	v_add_f32_e32 v51, v51, v57
	v_add_f32_e32 v52, v52, v58
	v_fma_f32 v57, v47, s11, -v56
	v_fmac_f32_e32 v56, 0xbe8c1d8e, v47
	v_mul_f32_e32 v58, 0x3eb8f4ab, v46
	v_add_f32_e32 v53, v53, v59
	v_add_f32_e32 v56, v56, v60
	v_fma_f32 v59, v47, s14, -v58
	v_fmac_f32_e32 v58, 0x3f6eb680, v47
	v_mul_f32_e32 v60, 0xbf65296c, v46
	v_add_f32_e32 v57, v57, v61
	v_add_f32_e32 v58, v58, v64
	v_fma_f32 v61, v47, s7, -v60
	v_fmac_f32_e32 v60, 0x3ee437d1, v47
	v_mul_f32_e32 v64, 0xbf06c442, v46
	v_add_f32_e32 v59, v59, v65
	v_add_f32_e32 v60, v60, v66
	v_fma_f32 v65, v47, s16, -v64
	v_fmac_f32_e32 v64, 0xbf59a7d5, v47
	v_mul_f32_e32 v66, 0x3f4c4adb, v46
	v_mul_f32_e32 v46, 0x3f2c7751, v46
	v_sub_f32_e32 v40, v40, v44
	v_add_f32_e32 v64, v64, v68
	v_fma_f32 v68, v47, s10, -v46
	v_fmac_f32_e32 v46, 0x3f3d2fb0, v47
	v_add_f32_e32 v41, v41, v45
	v_mul_f32_e32 v44, 0xbf763a35, v40
	v_add_f32_e32 v10, v46, v10
	v_fma_f32 v45, v41, s11, -v44
	v_fmac_f32_e32 v44, 0xbe8c1d8e, v41
	v_mul_f32_e32 v46, 0x3f06c442, v40
	v_add_f32_e32 v61, v61, v67
	v_fma_f32 v67, v47, s15, -v66
	v_fmac_f32_e32 v66, 0xbf1a4643, v47
	v_add_f32_e32 v44, v44, v50
	v_fma_f32 v47, v41, s16, -v46
	v_fmac_f32_e32 v46, 0xbf59a7d5, v41
	v_mul_f32_e32 v50, 0x3f2c7751, v40
	v_add_f32_e32 v45, v45, v51
	;; [unrolled: 38-line block ×3, first 2 shown]
	v_add_f32_e32 v40, v40, v46
	v_fma_f32 v45, v35, s14, -v44
	v_fmac_f32_e32 v44, 0x3f6eb680, v35
	v_mul_f32_e32 v46, 0xbf06c442, v34
	v_add_f32_e32 v41, v41, v47
	v_add_f32_e32 v44, v44, v50
	v_fma_f32 v47, v35, s16, -v46
	v_fmac_f32_e32 v46, 0xbf59a7d5, v35
	v_mul_f32_e32 v50, 0x3f7ee86f, v34
	v_add_f32_e32 v45, v45, v51
	v_add_f32_e32 v46, v46, v52
	v_fma_f32 v51, v35, s6, -v50
	v_fmac_f32_e32 v50, 0x3dbcf732, v35
	v_mul_f32_e32 v52, 0xbf2c7751, v34
	v_sub_f32_e32 v28, v28, v30
	v_add_f32_e32 v79, v83, v79
	v_add_f32_e32 v47, v47, v53
	;; [unrolled: 1-line block ×3, first 2 shown]
	v_fma_f32 v53, v35, s10, -v52
	v_fmac_f32_e32 v52, 0x3f3d2fb0, v35
	v_mul_f32_e32 v56, 0xbe3c28d5, v34
	v_mul_f32_e32 v34, 0x3f65296c, v34
	v_add_f32_e32 v29, v29, v31
	v_mul_f32_e32 v30, 0xbf06c442, v28
	v_sub_f32_e32 v22, v22, v24
	v_add_f32_e32 v78, v82, v78
	v_add_f32_e32 v75, v79, v75
	v_add_f32_e32 v52, v52, v58
	v_fma_f32 v58, v35, s7, -v34
	v_fmac_f32_e32 v34, 0x3ee437d1, v35
	v_fma_f32 v31, v29, s16, -v30
	v_fmac_f32_e32 v30, 0xbf59a7d5, v29
	v_add_f32_e32 v23, v23, v25
	v_mul_f32_e32 v24, 0xbe3c28d5, v22
	v_add_f32_e32 v74, v78, v74
	v_add_f32_e32 v68, v68, v75
	;; [unrolled: 1-line block ×4, first 2 shown]
	v_mul_f32_e32 v34, 0x3f65296c, v28
	v_fma_f32 v25, v23, s17, -v24
	v_fmac_f32_e32 v24, 0xbf7ba420, v23
	v_add_f32_e32 v67, v67, v74
	v_add_f32_e32 v64, v64, v68
	;; [unrolled: 1-line block ×3, first 2 shown]
	v_fma_f32 v57, v35, s17, -v56
	v_fmac_f32_e32 v56, 0xbf7ba420, v35
	v_add_f32_e32 v31, v31, v39
	v_fma_f32 v35, v29, s7, -v34
	v_fmac_f32_e32 v34, 0x3ee437d1, v29
	v_add_f32_e32 v74, v24, v30
	v_mul_f32_e32 v24, 0x3eb8f4ab, v22
	v_add_f32_e32 v76, v80, v76
	v_add_f32_e32 v58, v58, v64
	;; [unrolled: 1-line block ×3, first 2 shown]
	v_mul_f32_e32 v38, 0xbf7ee86f, v28
	v_add_f32_e32 v64, v25, v31
	v_fma_f32 v25, v23, s14, -v24
	v_fmac_f32_e32 v24, 0x3f6eb680, v23
	v_add_f32_e32 v69, v76, v69
	v_add_f32_e32 v35, v35, v41
	v_fma_f32 v39, v29, s6, -v38
	v_fmac_f32_e32 v38, 0x3dbcf732, v29
	v_add_f32_e32 v76, v24, v34
	v_mul_f32_e32 v24, 0xbf06c442, v22
	v_add_f32_e32 v38, v38, v44
	v_mul_f32_e32 v40, 0x3f4c4adb, v28
	v_add_f32_e32 v75, v25, v35
	v_fma_f32 v25, v23, s16, -v24
	v_fmac_f32_e32 v24, 0xbf59a7d5, v23
	v_add_f32_e32 v77, v81, v77
	v_add_f32_e32 v39, v39, v45
	v_fma_f32 v41, v29, s15, -v40
	v_fmac_f32_e32 v40, 0xbf1a4643, v29
	v_add_f32_e32 v78, v24, v38
	v_mul_f32_e32 v24, 0x3f2c7751, v22
	v_add_f32_e32 v72, v77, v72
	v_add_f32_e32 v40, v40, v46
	v_mul_f32_e32 v44, 0xbeb8f4ab, v28
	v_add_f32_e32 v77, v25, v39
	v_fma_f32 v25, v23, s10, -v24
	v_fmac_f32_e32 v24, 0x3f3d2fb0, v23
	v_add_f32_e32 v41, v41, v47
	v_fma_f32 v45, v29, s14, -v44
	v_fmac_f32_e32 v44, 0x3f6eb680, v29
	v_add_f32_e32 v80, v24, v40
	v_mul_f32_e32 v24, 0xbf4c4adb, v22
	v_add_f32_e32 v65, v65, v69
	v_add_f32_e32 v44, v44, v50
	v_mul_f32_e32 v46, 0xbe3c28d5, v28
	v_add_f32_e32 v79, v25, v41
	v_fma_f32 v25, v23, s15, -v24
	v_fmac_f32_e32 v24, 0xbf1a4643, v23
	v_add_f32_e32 v66, v66, v72
	v_add_f32_e32 v59, v59, v65
	;; [unrolled: 1-line block ×3, first 2 shown]
	v_fma_f32 v47, v29, s17, -v46
	v_fmac_f32_e32 v46, 0xbf7ba420, v29
	v_add_f32_e32 v82, v24, v44
	v_mul_f32_e32 v24, 0x3f65296c, v22
	v_add_f32_e32 v60, v60, v66
	v_add_f32_e32 v53, v53, v59
	;; [unrolled: 1-line block ×3, first 2 shown]
	v_mul_f32_e32 v50, 0x3f2c7751, v28
	v_add_f32_e32 v81, v25, v45
	v_fma_f32 v25, v23, s7, -v24
	v_fmac_f32_e32 v24, 0x3ee437d1, v23
	v_add_f32_e32 v56, v56, v60
	v_add_f32_e32 v47, v47, v53
	v_fma_f32 v51, v29, s10, -v50
	v_fmac_f32_e32 v50, 0x3f3d2fb0, v29
	v_mul_f32_e32 v28, 0xbf763a35, v28
	v_add_f32_e32 v84, v24, v46
	v_mul_f32_e32 v24, 0xbf763a35, v22
	v_add_f32_e32 v50, v50, v56
	v_fma_f32 v52, v29, s11, -v28
	v_fmac_f32_e32 v28, 0xbe8c1d8e, v29
	v_add_f32_e32 v83, v25, v47
	v_fma_f32 v25, v23, s11, -v24
	v_fmac_f32_e32 v24, 0xbe8c1d8e, v23
	v_mul_f32_e32 v22, 0x3f7ee86f, v22
	v_add_f32_e32 v10, v28, v10
	v_add_f32_e32 v86, v24, v50
	v_fma_f32 v24, v23, s6, -v22
	v_fmac_f32_e32 v22, 0x3dbcf732, v23
	v_add_f32_e32 v61, v61, v67
	v_add_f32_e32 v88, v22, v10
	v_lshlrev_b32_e32 v10, 6, v70
	v_add_f32_e32 v57, v57, v61
	v_sub_u32_e32 v61, v71, v10
	v_add_f32_e32 v51, v51, v57
	v_add_f32_e32 v52, v52, v58
	v_add_u32_e32 v65, 0x400, v61
	v_add_u32_e32 v10, 0xc00, v61
	;; [unrolled: 1-line block ×6, first 2 shown]
	v_add_f32_e32 v85, v25, v51
	v_add_f32_e32 v87, v24, v52
	s_waitcnt lgkmcnt(0)
	; wave barrier
	s_waitcnt lgkmcnt(0)
	ds_read2_b32 v[34:35], v61 offset1:51
	ds_read2_b32 v[22:23], v65 offset0:152 offset1:203
	ds_read2_b32 v[58:59], v10 offset0:150 offset1:201
	ds_read2_b32 v[56:57], v66 offset0:126 offset1:177
	ds_read2_b32 v[30:31], v61 offset0:102 offset1:153
	ds_read2_b32 v[52:53], v69 offset0:124 offset1:175
	ds_read2_b32 v[50:51], v67 offset0:100 offset1:151
	ds_read2_b32 v[28:29], v61 offset0:204 offset1:255
	ds_read2_b32 v[46:47], v68 offset0:98 offset1:149
	ds_read2_b32 v[44:45], v67 offset0:202 offset1:253
	ds_read2_b32 v[24:25], v65 offset0:50 offset1:101
	ds_read2_b32 v[40:41], v68 offset0:200 offset1:251
	ds_read2_b32 v[38:39], v10 offset0:48 offset1:99
	ds_read_b32 v72, v61 offset:5304
	v_add_u32_e32 v60, 51, v70
	s_waitcnt lgkmcnt(0)
	; wave barrier
	s_waitcnt lgkmcnt(0)
	ds_write2_b32 v71, v73, v64 offset1:1
	ds_write2_b32 v71, v75, v77 offset0:2 offset1:3
	ds_write2_b32 v71, v79, v81 offset0:4 offset1:5
	;; [unrolled: 1-line block ×7, first 2 shown]
	ds_write_b32 v71, v74 offset:64
	s_and_saveexec_b64 s[4:5], s[0:1]
	s_cbranch_execz .LBB0_17
; %bb.16:
	v_add_f32_e32 v64, v11, v33
	v_add_f32_e32 v64, v64, v27
	;; [unrolled: 1-line block ×14, first 2 shown]
	v_sub_f32_e32 v32, v32, v62
	v_add_f32_e32 v64, v55, v64
	v_add_f32_e32 v33, v33, v63
	v_mul_f32_e32 v62, 0xbeb8f4ab, v32
	s_mov_b32 s10, 0x3f6eb680
	v_mul_f32_e32 v71, 0xbf2c7751, v32
	s_mov_b32 s6, 0x3f3d2fb0
	;; [unrolled: 2-line block ×8, first 2 shown]
	v_add_f32_e32 v64, v63, v64
	v_fma_f32 v63, v33, s10, -v62
	v_fmac_f32_e32 v62, 0x3f6eb680, v33
	v_fma_f32 v73, v33, s6, -v71
	v_fmac_f32_e32 v71, 0x3f3d2fb0, v33
	;; [unrolled: 2-line block ×8, first 2 shown]
	v_sub_f32_e32 v26, v26, v54
	v_add_f32_e32 v63, v11, v63
	v_add_f32_e32 v62, v11, v62
	;; [unrolled: 1-line block ×17, first 2 shown]
	v_mul_f32_e32 v32, 0xbf2c7751, v26
	v_fma_f32 v33, v27, s6, -v32
	v_fmac_f32_e32 v32, 0x3f3d2fb0, v27
	v_mul_f32_e32 v54, 0xbf7ee86f, v26
	v_add_f32_e32 v32, v62, v32
	v_fma_f32 v55, v27, s0, -v54
	v_fmac_f32_e32 v54, 0x3dbcf732, v27
	v_mul_f32_e32 v62, 0xbf4c4adb, v26
	v_add_f32_e32 v33, v63, v33
	v_add_f32_e32 v54, v71, v54
	v_fma_f32 v63, v27, s11, -v62
	v_fmac_f32_e32 v62, 0xbf1a4643, v27
	v_mul_f32_e32 v71, 0xbe3c28d5, v26
	v_add_f32_e32 v55, v73, v55
	;; [unrolled: 5-line block ×4, first 2 shown]
	v_add_f32_e32 v74, v78, v74
	v_fma_f32 v77, v27, s7, -v76
	v_fmac_f32_e32 v76, 0xbe8c1d8e, v27
	v_mul_f32_e32 v78, 0x3f65296c, v26
	v_mul_f32_e32 v26, 0x3eb8f4ab, v26
	v_add_f32_e32 v76, v80, v76
	v_fma_f32 v80, v27, s10, -v26
	v_fmac_f32_e32 v26, 0x3f6eb680, v27
	v_sub_f32_e32 v16, v16, v48
	v_add_f32_e32 v11, v11, v26
	v_add_f32_e32 v17, v17, v49
	v_mul_f32_e32 v26, 0xbf65296c, v16
	v_add_f32_e32 v75, v79, v75
	v_fma_f32 v79, v27, s1, -v78
	v_fmac_f32_e32 v78, 0x3ee437d1, v27
	v_fma_f32 v27, v17, s1, -v26
	v_fmac_f32_e32 v26, 0x3ee437d1, v17
	v_add_f32_e32 v26, v32, v26
	v_mul_f32_e32 v32, 0xbf4c4adb, v16
	v_add_f32_e32 v27, v33, v27
	v_fma_f32 v33, v17, s11, -v32
	v_fmac_f32_e32 v32, 0xbf1a4643, v17
	v_mul_f32_e32 v48, 0x3e3c28d5, v16
	v_add_f32_e32 v32, v54, v32
	v_fma_f32 v49, v17, s15, -v48
	v_fmac_f32_e32 v48, 0xbf7ba420, v17
	v_mul_f32_e32 v54, 0x3f763a35, v16
	v_add_f32_e32 v33, v55, v33
	v_add_f32_e32 v48, v62, v48
	v_fma_f32 v55, v17, s7, -v54
	v_fmac_f32_e32 v54, 0xbe8c1d8e, v17
	v_mul_f32_e32 v62, 0x3f2c7751, v16
	v_add_f32_e32 v49, v63, v49
	;; [unrolled: 5-line block ×3, first 2 shown]
	v_add_f32_e32 v62, v74, v62
	v_fma_f32 v73, v17, s10, -v71
	v_fmac_f32_e32 v71, 0x3f6eb680, v17
	v_mul_f32_e32 v74, 0xbf7ee86f, v16
	v_mul_f32_e32 v16, 0xbf06c442, v16
	v_add_f32_e32 v63, v75, v63
	v_add_f32_e32 v71, v76, v71
	v_fma_f32 v75, v17, s0, -v74
	v_fmac_f32_e32 v74, 0x3dbcf732, v17
	v_fma_f32 v76, v17, s14, -v16
	v_fmac_f32_e32 v16, 0xbf59a7d5, v17
	v_sub_f32_e32 v17, v20, v42
	v_add_f32_e32 v11, v11, v16
	v_add_f32_e32 v16, v21, v43
	v_mul_f32_e32 v20, 0xbf7ee86f, v17
	v_fma_f32 v21, v16, s0, -v20
	v_fmac_f32_e32 v20, 0x3dbcf732, v16
	v_add_f32_e32 v20, v26, v20
	v_mul_f32_e32 v26, 0xbe3c28d5, v17
	v_add_f32_e32 v21, v27, v21
	v_fma_f32 v27, v16, s15, -v26
	v_fmac_f32_e32 v26, 0xbf7ba420, v16
	v_add_f32_e32 v26, v32, v26
	v_mul_f32_e32 v32, 0x3f763a35, v17
	v_add_f32_e32 v27, v33, v27
	v_fma_f32 v33, v16, s7, -v32
	v_fmac_f32_e32 v32, 0xbe8c1d8e, v16
	v_mul_f32_e32 v42, 0x3eb8f4ab, v17
	v_add_f32_e32 v32, v48, v32
	v_fma_f32 v43, v16, s10, -v42
	v_fmac_f32_e32 v42, 0x3f6eb680, v16
	v_mul_f32_e32 v48, 0xbf65296c, v17
	v_add_f32_e32 v33, v49, v33
	v_add_f32_e32 v42, v54, v42
	v_fma_f32 v49, v16, s1, -v48
	v_fmac_f32_e32 v48, 0x3ee437d1, v16
	v_mul_f32_e32 v54, 0xbf06c442, v17
	v_add_f32_e32 v43, v55, v43
	v_add_f32_e32 v48, v62, v48
	v_fma_f32 v55, v16, s14, -v54
	v_fmac_f32_e32 v54, 0xbf59a7d5, v16
	v_mul_f32_e32 v62, 0x3f4c4adb, v17
	v_mul_f32_e32 v17, 0x3f2c7751, v17
	v_sub_f32_e32 v14, v14, v36
	v_add_f32_e32 v49, v63, v49
	v_add_f32_e32 v54, v71, v54
	v_fma_f32 v63, v16, s11, -v62
	v_fmac_f32_e32 v62, 0xbf1a4643, v16
	v_fma_f32 v71, v16, s6, -v17
	v_fmac_f32_e32 v17, 0x3f3d2fb0, v16
	v_add_f32_e32 v15, v15, v37
	v_mul_f32_e32 v16, 0xbf763a35, v14
	v_add_f32_e32 v11, v11, v17
	v_fma_f32 v17, v15, s7, -v16
	v_fmac_f32_e32 v16, 0xbe8c1d8e, v15
	v_add_f32_e32 v16, v20, v16
	v_mul_f32_e32 v20, 0x3f06c442, v14
	v_add_f32_e32 v17, v21, v17
	;; [unrolled: 5-line block ×4, first 2 shown]
	v_fma_f32 v33, v15, s1, -v32
	v_fmac_f32_e32 v32, 0x3ee437d1, v15
	v_mul_f32_e32 v36, 0xbe3c28d5, v14
	v_add_f32_e32 v32, v42, v32
	v_fma_f32 v37, v15, s15, -v36
	v_fmac_f32_e32 v36, 0xbf7ba420, v15
	v_mul_f32_e32 v42, 0x3f7ee86f, v14
	v_add_f32_e32 v33, v43, v33
	v_add_f32_e32 v36, v48, v36
	v_fma_f32 v43, v15, s0, -v42
	v_fmac_f32_e32 v42, 0x3dbcf732, v15
	v_mul_f32_e32 v48, 0xbeb8f4ab, v14
	v_mul_f32_e32 v14, 0xbf4c4adb, v14
	v_add_f32_e32 v42, v54, v42
	v_fma_f32 v54, v15, s11, -v14
	v_fmac_f32_e32 v14, 0xbf1a4643, v15
	v_sub_f32_e32 v8, v8, v18
	v_add_f32_e32 v11, v11, v14
	v_add_f32_e32 v9, v9, v19
	v_mul_f32_e32 v14, 0xbf4c4adb, v8
	v_add_f32_e32 v37, v49, v37
	v_fma_f32 v49, v15, s10, -v48
	v_fmac_f32_e32 v48, 0x3f6eb680, v15
	v_fma_f32 v15, v9, s11, -v14
	v_fmac_f32_e32 v14, 0xbf1a4643, v9
	v_add_f32_e32 v14, v16, v14
	v_mul_f32_e32 v16, 0x3f763a35, v8
	v_add_f32_e32 v15, v17, v15
	v_fma_f32 v17, v9, s7, -v16
	v_fmac_f32_e32 v16, 0xbe8c1d8e, v9
	v_mul_f32_e32 v18, 0xbeb8f4ab, v8
	v_add_f32_e32 v16, v20, v16
	v_fma_f32 v19, v9, s10, -v18
	v_fmac_f32_e32 v18, 0x3f6eb680, v9
	v_mul_f32_e32 v20, 0xbf06c442, v8
	v_add_f32_e32 v17, v21, v17
	v_add_f32_e32 v18, v26, v18
	v_fma_f32 v21, v9, s14, -v20
	v_fmac_f32_e32 v20, 0xbf59a7d5, v9
	v_mul_f32_e32 v26, 0x3f7ee86f, v8
	v_add_f32_e32 v19, v27, v19
	;; [unrolled: 5-line block ×3, first 2 shown]
	v_add_f32_e32 v26, v36, v26
	v_fma_f32 v33, v9, s6, -v32
	v_fmac_f32_e32 v32, 0x3f3d2fb0, v9
	v_mul_f32_e32 v36, 0xbe3c28d5, v8
	v_mul_f32_e32 v8, 0x3f65296c, v8
	v_sub_f32_e32 v2, v2, v12
	v_add_f32_e32 v27, v37, v27
	v_add_f32_e32 v32, v42, v32
	v_fma_f32 v37, v9, s15, -v36
	v_fmac_f32_e32 v36, 0xbf7ba420, v9
	v_fma_f32 v42, v9, s1, -v8
	v_fmac_f32_e32 v8, 0x3ee437d1, v9
	v_add_f32_e32 v3, v3, v13
	v_mul_f32_e32 v9, 0xbf06c442, v2
	v_add_f32_e32 v8, v11, v8
	v_fma_f32 v11, v3, s14, -v9
	v_fmac_f32_e32 v9, 0xbf59a7d5, v3
	v_mul_f32_e32 v12, 0x3f65296c, v2
	v_add_f32_e32 v9, v14, v9
	v_fma_f32 v13, v3, s1, -v12
	v_fmac_f32_e32 v12, 0x3ee437d1, v3
	v_mul_f32_e32 v14, 0xbf7ee86f, v2
	v_add_f32_e32 v11, v15, v11
	v_add_f32_e32 v12, v16, v12
	v_fma_f32 v15, v3, s0, -v14
	v_fmac_f32_e32 v14, 0x3dbcf732, v3
	v_mul_f32_e32 v16, 0x3f4c4adb, v2
	v_add_f32_e32 v13, v17, v13
	;; [unrolled: 5-line block ×4, first 2 shown]
	v_add_f32_e32 v18, v26, v18
	v_fma_f32 v21, v3, s15, -v20
	v_fmac_f32_e32 v20, 0xbf7ba420, v3
	v_mul_f32_e32 v26, 0x3f2c7751, v2
	v_mul_f32_e32 v2, 0xbf763a35, v2
	v_sub_f32_e32 v4, v4, v6
	v_add_f32_e32 v19, v27, v19
	v_add_f32_e32 v20, v32, v20
	v_fma_f32 v27, v3, s6, -v26
	v_fmac_f32_e32 v26, 0x3f3d2fb0, v3
	v_fma_f32 v32, v3, s7, -v2
	v_fmac_f32_e32 v2, 0xbe8c1d8e, v3
	v_add_f32_e32 v3, v5, v7
	v_mul_f32_e32 v5, 0xbe3c28d5, v4
	v_fma_f32 v6, v3, s15, -v5
	v_fmac_f32_e32 v5, 0xbf7ba420, v3
	v_mul_f32_e32 v7, 0x3eb8f4ab, v4
	v_add_f32_e32 v2, v8, v2
	v_add_f32_e32 v5, v9, v5
	v_fma_f32 v8, v3, s10, -v7
	v_fmac_f32_e32 v7, 0x3f6eb680, v3
	v_mul_f32_e32 v9, 0xbf06c442, v4
	v_add_f32_e32 v77, v81, v77
	v_add_f32_e32 v79, v83, v79
	v_add_f32_e32 v78, v82, v78
	v_add_f32_e32 v80, v84, v80
	v_add_f32_e32 v6, v11, v6
	v_add_f32_e32 v7, v12, v7
	v_fma_f32 v11, v3, s14, -v9
	v_fmac_f32_e32 v9, 0xbf59a7d5, v3
	v_mul_f32_e32 v12, 0x3f2c7751, v4
	v_add_f32_e32 v73, v77, v73
	v_add_f32_e32 v75, v79, v75
	v_add_f32_e32 v74, v78, v74
	v_add_f32_e32 v76, v80, v76
	;; [unrolled: 9-line block ×4, first 2 shown]
	v_add_f32_e32 v13, v17, v13
	v_add_f32_e32 v14, v18, v14
	v_fma_f32 v17, v3, s1, -v16
	v_fmac_f32_e32 v16, 0x3ee437d1, v3
	v_mul_f32_e32 v18, 0xbf763a35, v4
	v_mul_f32_e32 v4, 0x3f7ee86f, v4
	v_add_f32_e32 v33, v43, v33
	v_add_f32_e32 v37, v49, v37
	;; [unrolled: 1-line block ×5, first 2 shown]
	v_fma_f32 v20, v3, s0, -v4
	s_movk_i32 s0, 0x44
	v_add_f32_e32 v21, v33, v21
	v_add_f32_e32 v27, v37, v27
	;; [unrolled: 1-line block ×5, first 2 shown]
	v_fma_f32 v19, v3, s7, -v18
	v_fmac_f32_e32 v18, 0xbe8c1d8e, v3
	v_fmac_f32_e32 v4, 0x3dbcf732, v3
	v_mad_u32_u24 v3, v60, s0, 0
	v_add_f32_e32 v17, v21, v17
	v_add_f32_e32 v19, v27, v19
	;; [unrolled: 1-line block ×5, first 2 shown]
	ds_write2_b32 v3, v64, v6 offset1:1
	ds_write2_b32 v3, v8, v11 offset0:2 offset1:3
	ds_write2_b32 v3, v13, v15 offset0:4 offset1:5
	;; [unrolled: 1-line block ×7, first 2 shown]
	ds_write_b32 v3, v5 offset:64
.LBB0_17:
	s_or_b64 exec, exec, s[4:5]
	s_movk_i32 s0, 0xf1
	v_add_u32_e32 v64, 0x66, v70
	v_add_u32_e32 v63, 0x99, v70
	;; [unrolled: 1-line block ×3, first 2 shown]
	v_mul_lo_u16_sdwa v2, v70, s0 dst_sel:DWORD dst_unused:UNUSED_PAD src0_sel:BYTE_0 src1_sel:DWORD
	v_mul_lo_u16_sdwa v6, v60, s0 dst_sel:DWORD dst_unused:UNUSED_PAD src0_sel:BYTE_0 src1_sel:DWORD
	;; [unrolled: 1-line block ×5, first 2 shown]
	v_lshrrev_b16_e32 v21, 12, v2
	v_lshrrev_b16_e32 v105, 12, v6
	v_lshrrev_b16_e32 v107, 12, v11
	v_lshrrev_b16_e32 v109, 12, v15
	v_lshrrev_b16_e32 v111, 12, v20
	v_mul_lo_u16_e32 v2, 17, v21
	v_mul_lo_u16_e32 v6, 17, v105
	;; [unrolled: 1-line block ×5, first 2 shown]
	v_sub_u16_e32 v71, v70, v2
	v_mov_b32_e32 v19, 4
	v_sub_u16_e32 v106, v60, v6
	v_sub_u16_e32 v108, v64, v11
	;; [unrolled: 1-line block ×4, first 2 shown]
	v_lshlrev_b32_sdwa v2, v19, v71 dst_sel:DWORD dst_unused:UNUSED_PAD src0_sel:DWORD src1_sel:BYTE_0
	v_lshlrev_b32_sdwa v6, v19, v106 dst_sel:DWORD dst_unused:UNUSED_PAD src0_sel:DWORD src1_sel:BYTE_0
	v_lshlrev_b32_sdwa v11, v19, v108 dst_sel:DWORD dst_unused:UNUSED_PAD src0_sel:DWORD src1_sel:BYTE_0
	v_lshlrev_b32_sdwa v15, v19, v110 dst_sel:DWORD dst_unused:UNUSED_PAD src0_sel:DWORD src1_sel:BYTE_0
	v_lshlrev_b32_sdwa v19, v19, v112 dst_sel:DWORD dst_unused:UNUSED_PAD src0_sel:DWORD src1_sel:BYTE_0
	v_add_u32_e32 v55, 0xff, v70
	s_mov_b32 s0, 0xf0f1
	s_waitcnt lgkmcnt(0)
	; wave barrier
	s_waitcnt lgkmcnt(0)
	global_load_dwordx4 v[73:76], v19, s[8:9]
	v_mul_u32_u24_sdwa v19, v55, s0 dst_sel:DWORD dst_unused:UNUSED_PAD src0_sel:WORD_0 src1_sel:DWORD
	v_lshrrev_b32_e32 v113, 20, v19
	v_mul_lo_u16_e32 v19, 17, v113
	v_sub_u16_e32 v114, v55, v19
	v_lshlrev_b32_e32 v19, 4, v114
	v_add_u32_e32 v54, 0x132, v70
	global_load_dwordx4 v[77:80], v19, s[8:9]
	v_mul_u32_u24_sdwa v19, v54, s0 dst_sel:DWORD dst_unused:UNUSED_PAD src0_sel:WORD_0 src1_sel:DWORD
	v_lshrrev_b32_e32 v115, 20, v19
	v_mul_lo_u16_e32 v19, 17, v115
	v_sub_u16_e32 v116, v54, v19
	global_load_dwordx4 v[2:5], v2, s[8:9]
	v_lshlrev_b32_e32 v19, 4, v116
	global_load_dwordx4 v[6:9], v6, s[8:9]
	v_add_u32_e32 v49, 0x165, v70
	global_load_dwordx4 v[81:84], v19, s[8:9]
	v_mul_u32_u24_sdwa v19, v49, s0 dst_sel:DWORD dst_unused:UNUSED_PAD src0_sel:WORD_0 src1_sel:DWORD
	v_lshrrev_b32_e32 v117, 20, v19
	global_load_dwordx4 v[11:14], v11, s[8:9]
	v_mul_lo_u16_e32 v19, 17, v117
	global_load_dwordx4 v[15:18], v15, s[8:9]
	v_sub_u16_e32 v118, v49, v19
	v_lshlrev_b32_e32 v19, 4, v118
	v_add_u32_e32 v48, 0x198, v70
	global_load_dwordx4 v[85:88], v19, s[8:9]
	v_mul_u32_u24_sdwa v19, v48, s0 dst_sel:DWORD dst_unused:UNUSED_PAD src0_sel:WORD_0 src1_sel:DWORD
	v_lshrrev_b32_e32 v119, 20, v19
	v_mul_lo_u16_e32 v19, 17, v119
	v_sub_u16_e32 v120, v48, v19
	v_lshlrev_b32_e32 v19, 4, v120
	global_load_dwordx4 v[89:92], v19, s[8:9]
	ds_read2_b32 v[19:20], v61 offset1:51
	ds_read2_b32 v[26:27], v65 offset0:152 offset1:203
	ds_read2_b32 v[32:33], v10 offset0:150 offset1:201
	;; [unrolled: 1-line block ×10, first 2 shown]
	s_waitcnt vmcnt(6) lgkmcnt(9)
	v_mul_f32_e32 v121, v27, v3
	v_mul_f32_e32 v3, v23, v3
	s_waitcnt lgkmcnt(8)
	v_mul_f32_e32 v122, v32, v5
	v_mul_f32_e32 v5, v58, v5
	v_fmac_f32_e32 v121, v23, v2
	v_fma_f32 v23, v27, v2, -v3
	v_fmac_f32_e32 v122, v58, v4
	v_fma_f32 v27, v32, v4, -v5
	ds_read2_b32 v[2:3], v68 offset0:200 offset1:251
	ds_read2_b32 v[4:5], v10 offset0:48 offset1:99
	s_waitcnt vmcnt(5)
	v_mul_f32_e32 v32, v33, v9
	v_mul_f32_e32 v9, v59, v9
	v_fmac_f32_e32 v32, v59, v8
	v_fma_f32 v8, v33, v8, -v9
	s_waitcnt lgkmcnt(9)
	v_mul_f32_e32 v9, v36, v7
	v_mul_f32_e32 v7, v56, v7
	v_fmac_f32_e32 v9, v56, v6
	v_fma_f32 v6, v36, v6, -v7
	s_waitcnt vmcnt(3)
	v_mul_f32_e32 v7, v37, v12
	v_mul_f32_e32 v12, v57, v12
	v_fmac_f32_e32 v7, v57, v11
	v_fma_f32 v11, v37, v11, -v12
	s_waitcnt lgkmcnt(7)
	v_mul_f32_e32 v12, v93, v14
	v_fmac_f32_e32 v12, v52, v13
	v_mul_f32_e32 v14, v52, v14
	s_waitcnt lgkmcnt(1)
	v_mul_f32_e32 v52, v2, v84
	v_fmac_f32_e32 v52, v40, v83
	v_mul_f32_e32 v40, v40, v84
	v_fma_f32 v2, v2, v83, -v40
	s_waitcnt vmcnt(1) lgkmcnt(0)
	v_mul_f32_e32 v40, v4, v86
	ds_read_b32 v58, v61 offset:5304
	v_fmac_f32_e32 v40, v38, v85
	v_mul_f32_e32 v38, v38, v86
	v_fma_f32 v4, v4, v85, -v38
	v_mul_f32_e32 v38, v3, v88
	v_fma_f32 v13, v93, v13, -v14
	v_mul_f32_e32 v14, v95, v16
	v_mul_f32_e32 v16, v50, v16
	v_fmac_f32_e32 v38, v41, v87
	v_mul_f32_e32 v41, v41, v88
	v_fmac_f32_e32 v14, v50, v15
	v_fma_f32 v15, v95, v15, -v16
	v_mul_f32_e32 v16, v94, v18
	v_fma_f32 v3, v3, v87, -v41
	s_waitcnt vmcnt(0)
	v_mul_f32_e32 v41, v5, v90
	v_add_f32_e32 v57, v121, v122
	v_fmac_f32_e32 v16, v53, v17
	v_mul_f32_e32 v18, v53, v18
	v_fmac_f32_e32 v41, v39, v89
	v_mul_f32_e32 v39, v39, v90
	v_mul_f32_e32 v53, v72, v92
	v_add_f32_e32 v56, v34, v121
	v_fma_f32 v34, -0.5, v57, v34
	v_fma_f32 v17, v94, v17, -v18
	v_mul_f32_e32 v18, v96, v74
	v_fma_f32 v5, v5, v89, -v39
	s_waitcnt lgkmcnt(0)
	v_mul_f32_e32 v39, v58, v92
	v_fma_f32 v53, v58, v91, -v53
	v_sub_f32_e32 v57, v23, v27
	v_mov_b32_e32 v58, v34
	v_fmac_f32_e32 v18, v51, v73
	v_mul_f32_e32 v33, v51, v74
	v_mul_f32_e32 v51, v102, v82
	v_fmac_f32_e32 v58, 0xbf5db3d7, v57
	v_fmac_f32_e32 v34, 0x3f5db3d7, v57
	v_add_f32_e32 v57, v19, v23
	v_add_f32_e32 v23, v23, v27
	v_fmac_f32_e32 v51, v45, v81
	v_mul_f32_e32 v45, v45, v82
	v_fma_f32 v19, -0.5, v23, v19
	v_fma_f32 v45, v102, v81, -v45
	v_add_f32_e32 v81, v57, v27
	v_sub_f32_e32 v23, v121, v122
	v_mov_b32_e32 v27, v19
	v_add_f32_e32 v57, v9, v32
	v_fmac_f32_e32 v27, 0x3f5db3d7, v23
	v_fmac_f32_e32 v19, 0xbf5db3d7, v23
	v_add_f32_e32 v23, v35, v9
	v_fmac_f32_e32 v35, -0.5, v57
	v_sub_f32_e32 v57, v6, v8
	v_mov_b32_e32 v59, v35
	v_fmac_f32_e32 v59, 0xbf5db3d7, v57
	v_fmac_f32_e32 v35, 0x3f5db3d7, v57
	v_add_f32_e32 v57, v20, v6
	v_add_f32_e32 v6, v6, v8
	v_fmac_f32_e32 v20, -0.5, v6
	v_sub_f32_e32 v6, v9, v32
	v_add_f32_e32 v9, v7, v12
	v_add_f32_e32 v82, v57, v8
	v_mov_b32_e32 v8, v20
	v_fma_f32 v9, -0.5, v9, v30
	v_add_f32_e32 v23, v23, v32
	v_fmac_f32_e32 v8, 0x3f5db3d7, v6
	v_fmac_f32_e32 v20, 0xbf5db3d7, v6
	v_add_f32_e32 v6, v30, v7
	v_sub_f32_e32 v30, v11, v13
	v_mov_b32_e32 v32, v9
	v_fmac_f32_e32 v32, 0xbf5db3d7, v30
	v_fmac_f32_e32 v9, 0x3f5db3d7, v30
	v_add_f32_e32 v30, v42, v11
	v_add_f32_e32 v11, v11, v13
	v_fma_f32 v11, -0.5, v11, v42
	v_add_f32_e32 v6, v6, v12
	v_add_f32_e32 v30, v30, v13
	v_sub_f32_e32 v7, v7, v12
	v_mov_b32_e32 v12, v11
	v_add_f32_e32 v13, v14, v16
	v_fmac_f32_e32 v12, 0x3f5db3d7, v7
	v_fmac_f32_e32 v11, 0xbf5db3d7, v7
	v_add_f32_e32 v7, v31, v14
	v_fmac_f32_e32 v31, -0.5, v13
	v_mul_f32_e32 v36, v99, v76
	v_sub_f32_e32 v13, v15, v17
	v_mov_b32_e32 v42, v31
	v_fmac_f32_e32 v36, v46, v75
	v_fmac_f32_e32 v42, 0xbf5db3d7, v13
	;; [unrolled: 1-line block ×3, first 2 shown]
	v_add_f32_e32 v13, v43, v15
	v_add_f32_e32 v15, v15, v17
	v_mul_f32_e32 v37, v46, v76
	v_add_f32_e32 v7, v7, v16
	v_fmac_f32_e32 v43, -0.5, v15
	v_sub_f32_e32 v14, v14, v16
	v_add_f32_e32 v16, v18, v36
	v_fma_f32 v33, v96, v73, -v33
	v_fma_f32 v37, v99, v75, -v37
	v_mov_b32_e32 v15, v43
	v_fma_f32 v16, -0.5, v16, v28
	v_add_f32_e32 v13, v13, v17
	v_fmac_f32_e32 v15, 0x3f5db3d7, v14
	v_fmac_f32_e32 v43, 0xbf5db3d7, v14
	v_add_f32_e32 v14, v28, v18
	v_sub_f32_e32 v17, v33, v37
	v_mov_b32_e32 v28, v16
	v_mul_f32_e32 v46, v101, v78
	v_mul_f32_e32 v50, v100, v80
	v_fmac_f32_e32 v28, 0xbf5db3d7, v17
	v_fmac_f32_e32 v16, 0x3f5db3d7, v17
	v_add_f32_e32 v17, v97, v33
	v_add_f32_e32 v33, v33, v37
	v_fmac_f32_e32 v46, v44, v77
	v_fmac_f32_e32 v50, v47, v79
	v_fma_f32 v33, -0.5, v33, v97
	v_mul_f32_e32 v44, v44, v78
	v_mul_f32_e32 v47, v47, v80
	v_add_f32_e32 v14, v14, v36
	v_add_f32_e32 v17, v17, v37
	v_sub_f32_e32 v18, v18, v36
	v_mov_b32_e32 v36, v33
	v_add_f32_e32 v37, v46, v50
	v_fma_f32 v44, v101, v77, -v44
	v_fma_f32 v47, v100, v79, -v47
	v_fmac_f32_e32 v36, 0x3f5db3d7, v18
	v_fmac_f32_e32 v33, 0xbf5db3d7, v18
	v_add_f32_e32 v18, v29, v46
	v_fmac_f32_e32 v29, -0.5, v37
	v_sub_f32_e32 v37, v44, v47
	v_mov_b32_e32 v57, v29
	v_fmac_f32_e32 v57, 0xbf5db3d7, v37
	v_fmac_f32_e32 v29, 0x3f5db3d7, v37
	v_add_f32_e32 v37, v98, v44
	v_add_f32_e32 v44, v44, v47
	v_fmac_f32_e32 v98, -0.5, v44
	v_sub_f32_e32 v44, v46, v50
	v_mov_b32_e32 v83, v98
	v_add_f32_e32 v46, v51, v52
	v_fmac_f32_e32 v83, 0x3f5db3d7, v44
	v_fmac_f32_e32 v98, 0xbf5db3d7, v44
	v_add_f32_e32 v44, v24, v51
	v_fma_f32 v24, -0.5, v46, v24
	v_add_f32_e32 v37, v37, v47
	v_sub_f32_e32 v46, v45, v2
	v_mov_b32_e32 v47, v24
	v_fmac_f32_e32 v47, 0xbf5db3d7, v46
	v_fmac_f32_e32 v24, 0x3f5db3d7, v46
	v_add_f32_e32 v46, v103, v45
	v_add_f32_e32 v84, v46, v2
	;; [unrolled: 1-line block ×3, first 2 shown]
	v_fma_f32 v2, -0.5, v2, v103
	v_sub_f32_e32 v45, v51, v52
	v_mov_b32_e32 v85, v2
	v_add_f32_e32 v46, v40, v38
	v_fmac_f32_e32 v85, 0x3f5db3d7, v45
	v_fmac_f32_e32 v2, 0xbf5db3d7, v45
	v_add_f32_e32 v45, v25, v40
	v_fmac_f32_e32 v25, -0.5, v46
	v_add_f32_e32 v18, v18, v50
	v_sub_f32_e32 v46, v4, v3
	v_mov_b32_e32 v50, v25
	v_fmac_f32_e32 v50, 0xbf5db3d7, v46
	v_fmac_f32_e32 v25, 0x3f5db3d7, v46
	v_add_f32_e32 v46, v104, v4
	v_add_f32_e32 v86, v46, v3
	;; [unrolled: 1-line block ×3, first 2 shown]
	v_fmac_f32_e32 v39, v72, v91
	v_fmac_f32_e32 v104, -0.5, v3
	v_add_f32_e32 v45, v45, v38
	v_sub_f32_e32 v3, v40, v38
	v_mov_b32_e32 v38, v104
	v_add_f32_e32 v4, v41, v39
	v_fmac_f32_e32 v38, 0x3f5db3d7, v3
	v_fmac_f32_e32 v104, 0xbf5db3d7, v3
	v_add_f32_e32 v3, v22, v41
	v_fmac_f32_e32 v22, -0.5, v4
	v_sub_f32_e32 v4, v5, v53
	v_mov_b32_e32 v40, v22
	v_fmac_f32_e32 v40, 0xbf5db3d7, v4
	v_fmac_f32_e32 v22, 0x3f5db3d7, v4
	v_add_f32_e32 v4, v26, v5
	v_add_f32_e32 v87, v4, v53
	;; [unrolled: 1-line block ×3, first 2 shown]
	v_fmac_f32_e32 v26, -0.5, v4
	v_add_f32_e32 v3, v3, v39
	v_sub_f32_e32 v4, v41, v39
	v_mov_b32_e32 v39, v26
	v_mov_b32_e32 v5, 2
	v_fmac_f32_e32 v39, 0x3f5db3d7, v4
	v_fmac_f32_e32 v26, 0xbf5db3d7, v4
	v_mul_u32_u24_e32 v4, 0xcc, v21
	v_lshlrev_b32_sdwa v21, v5, v71 dst_sel:DWORD dst_unused:UNUSED_PAD src0_sel:DWORD src1_sel:BYTE_0
	v_add_f32_e32 v56, v56, v122
	v_add3_u32 v21, 0, v4, v21
	s_waitcnt lgkmcnt(0)
	; wave barrier
	ds_write2_b32 v21, v56, v58 offset1:17
	ds_write_b32 v21, v34 offset:136
	v_mul_u32_u24_e32 v4, 0xcc, v105
	v_lshlrev_b32_sdwa v34, v5, v106 dst_sel:DWORD dst_unused:UNUSED_PAD src0_sel:DWORD src1_sel:BYTE_0
	v_add3_u32 v34, 0, v4, v34
	ds_write2_b32 v34, v23, v59 offset1:17
	ds_write_b32 v34, v35 offset:136
	v_mul_u32_u24_e32 v4, 0xcc, v107
	v_lshlrev_b32_sdwa v23, v5, v108 dst_sel:DWORD dst_unused:UNUSED_PAD src0_sel:DWORD src1_sel:BYTE_0
	v_add3_u32 v23, 0, v4, v23
	;; [unrolled: 5-line block ×3, first 2 shown]
	v_mul_u32_u24_e32 v4, 0xcc, v111
	v_lshlrev_b32_sdwa v5, v5, v112 dst_sel:DWORD dst_unused:UNUSED_PAD src0_sel:DWORD src1_sel:BYTE_0
	ds_write2_b32 v9, v7, v42 offset1:17
	ds_write_b32 v9, v31 offset:136
	v_add3_u32 v31, 0, v4, v5
	v_mul_u32_u24_e32 v4, 0xcc, v113
	v_lshlrev_b32_e32 v5, 2, v114
	ds_write2_b32 v31, v14, v28 offset1:17
	ds_write_b32 v31, v16 offset:136
	v_add3_u32 v14, 0, v4, v5
	v_mul_u32_u24_e32 v4, 0xcc, v115
	v_lshlrev_b32_e32 v5, 2, v116
	v_add3_u32 v16, 0, v4, v5
	v_mul_u32_u24_e32 v4, 0xcc, v117
	v_lshlrev_b32_e32 v5, 2, v118
	v_add_f32_e32 v44, v44, v52
	ds_write2_b32 v14, v18, v57 offset1:17
	ds_write_b32 v14, v29 offset:136
	v_add3_u32 v18, 0, v4, v5
	v_mul_u32_u24_e32 v4, 0xcc, v119
	v_lshlrev_b32_e32 v5, 2, v120
	ds_write2_b32 v16, v44, v47 offset1:17
	ds_write_b32 v16, v24 offset:136
	v_add3_u32 v24, 0, v4, v5
	ds_write2_b32 v18, v45, v50 offset1:17
	ds_write_b32 v18, v25 offset:136
	ds_write2_b32 v24, v3, v40 offset1:17
	ds_write_b32 v24, v22 offset:136
	s_waitcnt lgkmcnt(0)
	; wave barrier
	s_waitcnt lgkmcnt(0)
	ds_read2_b32 v[6:7], v61 offset1:51
	ds_read2_b32 v[4:5], v61 offset0:102 offset1:153
	ds_read2_b32 v[44:45], v65 offset0:50 offset1:101
	;; [unrolled: 1-line block ×12, first 2 shown]
	ds_read_b32 v105, v61 offset:5304
	s_waitcnt lgkmcnt(0)
	; wave barrier
	s_waitcnt lgkmcnt(0)
	ds_write2_b32 v21, v81, v27 offset1:17
	ds_write_b32 v21, v19 offset:136
	ds_write2_b32 v34, v82, v8 offset1:17
	ds_write_b32 v34, v20 offset:136
	;; [unrolled: 2-line block ×9, first 2 shown]
	v_lshlrev_b32_e32 v2, 3, v70
	v_mov_b32_e32 v3, 0
	v_lshlrev_b64 v[8:9], 3, v[2:3]
	v_mov_b32_e32 v2, s9
	v_add_co_u32_e64 v8, s[0:1], s8, v8
	v_addc_co_u32_e64 v9, s[0:1], v2, v9, s[0:1]
	s_waitcnt lgkmcnt(0)
	; wave barrier
	s_waitcnt lgkmcnt(0)
	global_load_dwordx4 v[11:14], v[8:9], off offset:272
	global_load_dwordx4 v[15:18], v[8:9], off offset:288
	;; [unrolled: 1-line block ×4, first 2 shown]
	s_movk_i32 s0, 0xa1
	v_mul_lo_u16_sdwa v2, v64, s0 dst_sel:DWORD dst_unused:UNUSED_PAD src0_sel:BYTE_0 src1_sel:DWORD
	v_lshrrev_b16_e32 v2, 13, v2
	v_mul_lo_u16_e32 v2, 51, v2
	v_sub_u16_e32 v2, v64, v2
	v_and_b32_e32 v2, 0xff, v2
	v_lshlrev_b32_e32 v43, 6, v2
	ds_read2_b32 v[81:82], v61 offset1:51
	global_load_dwordx4 v[27:30], v43, s[8:9] offset:288
	global_load_dwordx4 v[31:34], v43, s[8:9] offset:272
	ds_read2_b32 v[8:9], v61 offset0:102 offset1:153
	ds_read2_b32 v[83:84], v65 offset0:50 offset1:101
	;; [unrolled: 1-line block ×12, first 2 shown]
	ds_read_b32 v106, v61 offset:5304
	global_load_dwordx4 v[35:38], v43, s[8:9] offset:320
	global_load_dwordx4 v[39:42], v43, s[8:9] offset:304
	s_mov_b32 s0, 0xbf248dbb
	v_lshl_add_u32 v2, v2, 2, 0
	s_waitcnt lgkmcnt(0)
	; wave barrier
	s_waitcnt vmcnt(7) lgkmcnt(0)
	v_mul_f32_e32 v107, v9, v12
	v_fmac_f32_e32 v107, v5, v11
	v_mul_f32_e32 v5, v5, v12
	v_fma_f32 v5, v9, v11, -v5
	v_mul_f32_e32 v9, v83, v14
	v_fmac_f32_e32 v9, v44, v13
	v_mul_f32_e32 v43, v44, v14
	s_waitcnt vmcnt(6)
	v_mul_f32_e32 v44, v86, v16
	v_fmac_f32_e32 v44, v47, v15
	v_mul_f32_e32 v47, v47, v16
	v_fma_f32 v47, v86, v15, -v47
	s_waitcnt vmcnt(5)
	v_mul_f32_e32 v86, v90, v20
	v_fmac_f32_e32 v86, v53, v19
	v_mul_f32_e32 v53, v53, v20
	v_fma_f32 v53, v90, v19, -v53
	;; [unrolled: 5-line block ×3, first 2 shown]
	v_mul_f32_e32 v94, v97, v12
	v_mul_f32_e32 v12, v73, v12
	v_fmac_f32_e32 v94, v73, v11
	v_fma_f32 v11, v97, v11, -v12
	v_mul_f32_e32 v12, v84, v14
	v_mul_f32_e32 v14, v45, v14
	v_fma_f32 v43, v83, v13, -v43
	v_mul_f32_e32 v83, v87, v18
	v_fmac_f32_e32 v12, v45, v13
	v_fma_f32 v13, v84, v13, -v14
	v_mul_f32_e32 v14, v99, v16
	v_mul_f32_e32 v16, v75, v16
	v_fmac_f32_e32 v83, v50, v17
	v_mul_f32_e32 v50, v50, v18
	v_fmac_f32_e32 v14, v75, v15
	v_fma_f32 v15, v99, v15, -v16
	v_mul_f32_e32 v16, v88, v18
	v_mul_f32_e32 v18, v51, v18
	v_fma_f32 v50, v87, v17, -v50
	v_mul_f32_e32 v87, v91, v22
	v_fmac_f32_e32 v16, v51, v17
	v_fma_f32 v17, v88, v17, -v18
	v_mul_f32_e32 v18, v101, v20
	v_mul_f32_e32 v20, v77, v20
	v_fmac_f32_e32 v87, v56, v21
	;; [unrolled: 12-line block ×3, first 2 shown]
	v_mul_f32_e32 v71, v71, v26
	v_fmac_f32_e32 v22, v79, v23
	v_fma_f32 v23, v103, v23, -v24
	v_mul_f32_e32 v24, v96, v26
	v_mul_f32_e32 v26, v72, v26
	v_fma_f32 v71, v95, v25, -v71
	v_fmac_f32_e32 v24, v72, v25
	v_fma_f32 v25, v96, v25, -v26
	s_waitcnt vmcnt(2)
	v_mul_f32_e32 v26, v98, v32
	v_mul_f32_e32 v32, v74, v32
	v_fmac_f32_e32 v26, v74, v31
	v_fma_f32 v31, v98, v31, -v32
	v_mul_f32_e32 v32, v85, v34
	v_mul_f32_e32 v34, v46, v34
	v_fmac_f32_e32 v32, v46, v33
	v_fma_f32 v33, v85, v33, -v34
	;; [unrolled: 4-line block ×4, first 2 shown]
	s_waitcnt vmcnt(0)
	v_mul_f32_e32 v30, v102, v40
	v_mul_f32_e32 v40, v78, v40
	v_fmac_f32_e32 v30, v78, v39
	v_fma_f32 v39, v102, v39, -v40
	v_mul_f32_e32 v40, v93, v42
	v_fmac_f32_e32 v40, v58, v41
	v_mul_f32_e32 v42, v58, v42
	v_sub_f32_e32 v58, v107, v91
	v_add_f32_e32 v45, v5, v71
	v_add_f32_e32 v46, v9, v90
	;; [unrolled: 1-line block ×3, first 2 shown]
	v_sub_f32_e32 v5, v5, v71
	v_sub_f32_e32 v9, v9, v90
	;; [unrolled: 1-line block ×3, first 2 shown]
	v_mul_f32_e32 v56, 0x3f248dbb, v58
	v_sub_f32_e32 v71, v83, v86
	v_add_f32_e32 v52, v44, v87
	v_sub_f32_e32 v44, v44, v87
	v_fmac_f32_e32 v56, 0x3f7c1c5c, v9
	v_mul_f32_e32 v77, 0xbf248dbb, v71
	v_add_f32_e32 v51, v43, v59
	v_sub_f32_e32 v43, v43, v59
	v_mul_f32_e32 v59, 0x3f248dbb, v5
	v_fmac_f32_e32 v56, 0x3f5db3d7, v44
	v_sub_f32_e32 v72, v50, v53
	v_fmac_f32_e32 v77, 0x3f7c1c5c, v58
	v_fmac_f32_e32 v59, 0x3f7c1c5c, v43
	;; [unrolled: 1-line block ×3, first 2 shown]
	v_mul_f32_e32 v78, 0xbf248dbb, v72
	v_fmac_f32_e32 v77, 0xbf5db3d7, v44
	v_add_f32_e32 v84, v71, v58
	v_mul_f32_e32 v71, 0x3f7c1c5c, v71
	v_fma_f32 v41, v93, v41, -v42
	v_mul_f32_e32 v42, v104, v36
	v_mul_f32_e32 v36, v80, v36
	v_fmac_f32_e32 v59, 0x3f5db3d7, v47
	v_fmac_f32_e32 v78, 0x3f7c1c5c, v5
	;; [unrolled: 1-line block ×3, first 2 shown]
	v_sub_f32_e32 v84, v84, v9
	v_add_f32_e32 v92, v51, v45
	v_fma_f32 v9, v9, s0, -v71
	v_fmac_f32_e32 v42, v80, v35
	v_fma_f32 v35, v104, v35, -v36
	v_mul_f32_e32 v36, v106, v38
	v_mul_f32_e32 v38, v105, v38
	v_fmac_f32_e32 v59, 0x3eaf1d44, v72
	v_fmac_f32_e32 v78, 0xbf5db3d7, v47
	v_add_f32_e32 v85, v72, v5
	v_mul_f32_e32 v72, 0x3f7c1c5c, v72
	v_fmac_f32_e32 v9, 0x3f5db3d7, v44
	v_add_f32_e32 v44, v57, v92
	v_fmac_f32_e32 v36, v105, v37
	v_fma_f32 v37, v106, v37, -v38
	v_add_f32_e32 v38, v107, v91
	v_fmac_f32_e32 v78, 0x3eaf1d44, v43
	v_sub_f32_e32 v85, v85, v43
	v_fma_f32 v43, v43, s0, -v72
	v_add_f32_e32 v44, v50, v44
	v_add_f32_e32 v91, v46, v38
	v_fmac_f32_e32 v43, 0x3f5db3d7, v47
	v_add_f32_e32 v44, v53, v44
	v_mov_b32_e32 v74, v81
	v_add_f32_e32 v75, v83, v86
	v_add_f32_e32 v76, v50, v53
	v_mov_b32_e32 v79, v6
	v_mov_b32_e32 v80, v81
	v_add_f32_e32 v90, v81, v57
	v_fmac_f32_e32 v43, 0x3eaf1d44, v5
	v_add_f32_e32 v5, v52, v91
	v_add_f32_e32 v47, v81, v44
	v_fmac_f32_e32 v81, 0x3f441b7d, v51
	v_fmac_f32_e32 v79, 0x3f441b7d, v75
	;; [unrolled: 1-line block ×3, first 2 shown]
	v_add_f32_e32 v5, v83, v5
	v_fmac_f32_e32 v81, 0x3e31d0d4, v76
	v_mov_b32_e32 v73, v6
	v_fmac_f32_e32 v79, 0x3e31d0d4, v38
	v_fmac_f32_e32 v80, 0x3e31d0d4, v45
	v_add_f32_e32 v5, v86, v5
	v_fmac_f32_e32 v81, -0.5, v57
	v_fmac_f32_e32 v73, 0x3f441b7d, v38
	v_fmac_f32_e32 v74, 0x3f441b7d, v45
	v_fmac_f32_e32 v79, -0.5, v52
	v_fmac_f32_e32 v80, -0.5, v57
	v_add_f32_e32 v89, v6, v52
	v_add_f32_e32 v5, v6, v5
	v_fmac_f32_e32 v6, 0x3f441b7d, v46
	v_fmac_f32_e32 v81, 0xbf708fb2, v45
	v_add_f32_e32 v44, v94, v24
	v_add_f32_e32 v45, v11, v25
	v_sub_f32_e32 v24, v94, v24
	v_mov_b32_e32 v53, v82
	v_fmac_f32_e32 v73, 0x3e31d0d4, v46
	v_fmac_f32_e32 v74, 0x3e31d0d4, v51
	;; [unrolled: 1-line block ×5, first 2 shown]
	v_add_f32_e32 v46, v12, v22
	v_add_f32_e32 v50, v13, v23
	;; [unrolled: 1-line block ×3, first 2 shown]
	v_sub_f32_e32 v12, v12, v22
	v_sub_f32_e32 v14, v14, v20
	v_mul_f32_e32 v20, 0x3f248dbb, v24
	v_fmac_f32_e32 v53, 0x3f441b7d, v45
	v_fmac_f32_e32 v73, -0.5, v52
	v_fmac_f32_e32 v6, -0.5, v52
	v_add_f32_e32 v52, v15, v21
	v_fmac_f32_e32 v20, 0x3f7c1c5c, v12
	v_fmac_f32_e32 v53, 0x3e31d0d4, v50
	;; [unrolled: 1-line block ×4, first 2 shown]
	v_sub_f32_e32 v22, v16, v18
	v_fmac_f32_e32 v53, -0.5, v52
	v_add_f32_e32 v58, v17, v19
	v_fmac_f32_e32 v74, -0.5, v57
	v_sub_f32_e32 v11, v11, v25
	v_fmac_f32_e32 v20, 0x3eaf1d44, v22
	v_fmac_f32_e32 v53, 0xbf708fb2, v58
	;; [unrolled: 1-line block ×3, first 2 shown]
	v_add_f32_e32 v95, v76, v92
	v_sub_f32_e32 v13, v13, v23
	v_sub_f32_e32 v15, v15, v21
	v_mul_f32_e32 v21, 0x3f248dbb, v11
	v_sub_f32_e32 v23, v17, v19
	v_add_f32_e32 v53, v20, v53
	v_mov_b32_e32 v76, v82
	v_fmac_f32_e32 v21, 0x3f7c1c5c, v13
	v_fma_f32 v71, -2.0, v20, v53
	v_mul_f32_e32 v20, 0xbf248dbb, v22
	v_mul_f32_e32 v72, 0xbf248dbb, v23
	v_fmac_f32_e32 v76, 0x3f441b7d, v58
	v_fmac_f32_e32 v21, 0x3f5db3d7, v15
	;; [unrolled: 1-line block ×8, first 2 shown]
	v_fmac_f32_e32 v76, -0.5, v52
	v_add_f32_e32 v83, v23, v11
	v_mul_f32_e32 v23, 0x3f7c1c5c, v23
	v_fmac_f32_e32 v20, 0x3eaf1d44, v12
	v_fmac_f32_e32 v72, 0x3eaf1d44, v13
	;; [unrolled: 1-line block ×3, first 2 shown]
	v_sub_f32_e32 v83, v83, v13
	v_fma_f32 v13, v13, s0, -v23
	v_add_f32_e32 v76, v20, v76
	v_add_f32_e32 v92, v46, v44
	v_fmac_f32_e32 v13, 0x3f5db3d7, v15
	v_add_f32_e32 v93, v75, v91
	v_fmac_f32_e32 v6, 0xbf708fb2, v38
	v_add_f32_e32 v38, v9, v81
	v_fma_f32 v81, -2.0, v20, v76
	v_add_f32_e32 v20, v22, v24
	v_mul_f32_e32 v22, 0x3f7c1c5c, v22
	v_fmac_f32_e32 v13, 0x3eaf1d44, v11
	v_add_f32_e32 v11, v51, v92
	v_fmac_f32_e32 v89, -0.5, v93
	v_sub_f32_e32 v20, v20, v12
	v_add_f32_e32 v93, v50, v45
	v_fma_f32 v12, v12, s0, -v22
	v_add_f32_e32 v11, v16, v11
	v_mul_f32_e32 v88, 0x3f5db3d7, v85
	v_fmac_f32_e32 v90, -0.5, v95
	v_fmac_f32_e32 v89, 0xbf5db3d7, v85
	v_fmac_f32_e32 v12, 0x3f5db3d7, v14
	v_add_f32_e32 v14, v52, v93
	v_add_f32_e32 v11, v18, v11
	v_fmac_f32_e32 v73, 0xbf708fb2, v75
	v_mul_f32_e32 v87, 0x3f5db3d7, v84
	v_fmac_f32_e32 v90, 0x3f5db3d7, v84
	v_fma_f32 v84, 2.0, v88, v89
	v_mov_b32_e32 v25, v7
	v_add_f32_e32 v57, v16, v18
	v_mov_b32_e32 v75, v7
	v_add_f32_e32 v88, v7, v51
	v_fmac_f32_e32 v12, 0x3eaf1d44, v24
	v_add_f32_e32 v14, v17, v14
	v_add_f32_e32 v11, v7, v11
	v_fmac_f32_e32 v7, 0x3f441b7d, v46
	v_add_f32_e32 v17, v31, v37
	v_add_f32_e32 v23, v27, v41
	v_sub_f32_e32 v24, v26, v36
	v_sub_f32_e32 v27, v27, v41
	v_mov_b32_e32 v41, v8
	v_add_f32_e32 v14, v19, v14
	v_fmac_f32_e32 v7, 0x3e31d0d4, v57
	v_add_f32_e32 v16, v26, v36
	v_add_f32_e32 v18, v32, v42
	;; [unrolled: 1-line block ×4, first 2 shown]
	v_sub_f32_e32 v26, v31, v37
	v_sub_f32_e32 v31, v32, v42
	;; [unrolled: 1-line block ×4, first 2 shown]
	v_mul_f32_e32 v34, 0x3f248dbb, v24
	v_fmac_f32_e32 v41, 0x3f441b7d, v17
	v_fmac_f32_e32 v75, 0x3f441b7d, v57
	v_fmac_f32_e32 v7, -0.5, v51
	v_fmac_f32_e32 v34, 0x3f7c1c5c, v31
	v_fmac_f32_e32 v41, 0x3e31d0d4, v19
	;; [unrolled: 1-line block ×6, first 2 shown]
	v_sub_f32_e32 v36, v28, v30
	v_fmac_f32_e32 v41, -0.5, v23
	v_add_f32_e32 v44, v29, v39
	v_fmac_f32_e32 v25, 0x3e31d0d4, v46
	v_fmac_f32_e32 v75, -0.5, v51
	v_fmac_f32_e32 v34, 0x3eaf1d44, v36
	v_fmac_f32_e32 v41, 0xbf708fb2, v44
	v_fmac_f32_e32 v25, -0.5, v51
	v_fmac_f32_e32 v75, 0xbf708fb2, v46
	v_add_f32_e32 v46, v34, v41
	v_mov_b32_e32 v51, v8
	v_add_f32_e32 v91, v82, v52
	v_add_f32_e32 v14, v82, v14
	v_fmac_f32_e32 v82, 0x3f441b7d, v50
	v_fma_f32 v50, -2.0, v34, v46
	v_mul_f32_e32 v34, 0xbf248dbb, v36
	v_fmac_f32_e32 v51, 0x3f441b7d, v44
	v_fmac_f32_e32 v34, 0x3f7c1c5c, v24
	;; [unrolled: 1-line block ×4, first 2 shown]
	v_fmac_f32_e32 v51, -0.5, v23
	v_mul_f32_e32 v35, 0x3f248dbb, v26
	v_sub_f32_e32 v37, v29, v39
	v_fmac_f32_e32 v34, 0x3eaf1d44, v31
	v_fmac_f32_e32 v51, 0xbf708fb2, v19
	;; [unrolled: 1-line block ×4, first 2 shown]
	v_mul_f32_e32 v41, 0xbf248dbb, v37
	v_add_f32_e32 v51, v34, v51
	v_fmac_f32_e32 v82, -0.5, v52
	v_fmac_f32_e32 v35, 0x3f5db3d7, v27
	v_fmac_f32_e32 v41, 0x3f7c1c5c, v26
	v_fma_f32 v52, -2.0, v34, v51
	v_add_f32_e32 v34, v36, v24
	v_mul_f32_e32 v36, 0x3f7c1c5c, v36
	v_fmac_f32_e32 v25, 0xbf708fb2, v57
	v_add_f32_e32 v94, v57, v92
	v_fmac_f32_e32 v35, 0x3eaf1d44, v37
	v_fmac_f32_e32 v41, 0xbf5db3d7, v27
	v_add_f32_e32 v57, v37, v26
	v_sub_f32_e32 v34, v34, v31
	v_mul_f32_e32 v37, 0x3f7c1c5c, v37
	v_fma_f32 v31, v31, s0, -v36
	v_fmac_f32_e32 v41, 0x3eaf1d44, v32
	v_sub_f32_e32 v57, v57, v32
	v_add_f32_e32 v92, v18, v16
	v_fma_f32 v32, v32, s0, -v37
	v_fmac_f32_e32 v31, 0x3f5db3d7, v33
	v_add_f32_e32 v95, v58, v93
	v_add_f32_e32 v93, v19, v17
	v_fmac_f32_e32 v32, 0x3f5db3d7, v27
	v_fmac_f32_e32 v31, 0x3eaf1d44, v24
	v_add_f32_e32 v24, v22, v92
	v_fmac_f32_e32 v91, -0.5, v95
	v_fmac_f32_e32 v32, 0x3eaf1d44, v26
	v_add_f32_e32 v26, v23, v93
	v_add_f32_e32 v24, v28, v24
	v_mul_f32_e32 v86, 0x3f5db3d7, v20
	v_fmac_f32_e32 v88, -0.5, v94
	v_fmac_f32_e32 v91, 0x3f5db3d7, v20
	v_fmac_f32_e32 v82, 0xbf708fb2, v45
	v_mov_b32_e32 v40, v4
	v_add_f32_e32 v42, v28, v30
	v_mov_b32_e32 v45, v4
	v_add_f32_e32 v26, v29, v26
	v_add_f32_e32 v24, v30, v24
	v_fma_f32 v85, -2.0, v87, v90
	v_mul_f32_e32 v87, 0x3f5db3d7, v83
	v_fmac_f32_e32 v88, 0xbf5db3d7, v83
	v_fma_f32 v83, -2.0, v86, v91
	v_fmac_f32_e32 v40, 0x3f441b7d, v16
	v_fmac_f32_e32 v45, 0x3f441b7d, v42
	v_add_f32_e32 v86, v4, v22
	v_add_f32_e32 v26, v39, v26
	;; [unrolled: 1-line block ×3, first 2 shown]
	v_fmac_f32_e32 v4, 0x3f441b7d, v18
	v_fma_f32 v20, 2.0, v87, v88
	v_fmac_f32_e32 v40, 0x3e31d0d4, v18
	v_fmac_f32_e32 v45, 0x3e31d0d4, v16
	v_add_f32_e32 v87, v8, v23
	v_add_f32_e32 v26, v8, v26
	v_fmac_f32_e32 v8, 0x3f441b7d, v19
	v_fmac_f32_e32 v4, 0x3e31d0d4, v42
	v_fmac_f32_e32 v40, -0.5, v22
	v_fmac_f32_e32 v45, -0.5, v22
	v_add_f32_e32 v94, v42, v92
	v_fmac_f32_e32 v8, 0x3e31d0d4, v44
	v_fmac_f32_e32 v4, -0.5, v22
	v_sub_f32_e32 v7, v7, v13
	v_fmac_f32_e32 v40, 0xbf708fb2, v42
	v_fmac_f32_e32 v45, 0xbf708fb2, v18
	v_add_f32_e32 v95, v44, v93
	v_fmac_f32_e32 v86, -0.5, v94
	v_fmac_f32_e32 v8, -0.5, v23
	v_fmac_f32_e32 v4, 0xbf708fb2, v16
	v_sub_f32_e32 v73, v73, v59
	v_sub_f32_e32 v79, v79, v78
	;; [unrolled: 1-line block ×5, first 2 shown]
	v_add_f32_e32 v15, v12, v82
	v_fma_f32 v13, 2.0, v13, v7
	v_sub_f32_e32 v40, v40, v35
	v_sub_f32_e32 v45, v45, v41
	v_mul_f32_e32 v82, 0x3f5db3d7, v57
	v_fmac_f32_e32 v87, -0.5, v95
	v_fmac_f32_e32 v86, 0xbf5db3d7, v57
	v_fmac_f32_e32 v8, 0xbf708fb2, v17
	v_sub_f32_e32 v4, v4, v32
	v_fma_f32 v59, 2.0, v59, v73
	v_fma_f32 v78, 2.0, v78, v79
	;; [unrolled: 1-line block ×7, first 2 shown]
	v_mul_f32_e32 v58, 0x3f5db3d7, v34
	v_fmac_f32_e32 v87, 0x3f5db3d7, v34
	v_fma_f32 v34, 2.0, v82, v86
	v_add_f32_e32 v8, v31, v8
	v_fma_f32 v16, 2.0, v32, v4
	ds_write2_b32 v61, v5, v73 offset1:51
	ds_write2_b32 v61, v79, v89 offset0:102 offset1:153
	ds_write2_b32 v61, v6, v43 offset0:204 offset1:255
	;; [unrolled: 1-line block ×8, first 2 shown]
	v_add_u32_e32 v7, 0xc00, v2
	v_add_u32_e32 v11, 0xe00, v2
	;; [unrolled: 1-line block ×3, first 2 shown]
	v_fma_f32 v18, -2.0, v31, v8
	ds_write2_b32 v7, v24, v40 offset0:150 offset1:201
	ds_write2_b32 v11, v45, v86 offset0:124 offset1:175
	;; [unrolled: 1-line block ×4, first 2 shown]
	ds_write_b32 v2, v35 offset:5304
	s_waitcnt lgkmcnt(0)
	; wave barrier
	s_waitcnt lgkmcnt(0)
	ds_read2_b32 v[22:23], v61 offset1:51
	ds_read2_b32 v[30:31], v65 offset0:152 offset1:203
	ds_read2_b32 v[28:29], v10 offset0:150 offset1:201
	;; [unrolled: 1-line block ×12, first 2 shown]
	ds_read_b32 v6, v61 offset:5304
	v_add_f32_e32 v74, v56, v74
	v_add_f32_e32 v80, v77, v80
	v_fma_f32 v56, -2.0, v56, v74
	v_fma_f32 v77, -2.0, v77, v80
	;; [unrolled: 1-line block ×5, first 2 shown]
	s_waitcnt lgkmcnt(0)
	; wave barrier
	s_waitcnt lgkmcnt(0)
	ds_write2_b32 v61, v47, v74 offset1:51
	ds_write2_b32 v61, v80, v90 offset0:102 offset1:153
	ds_write2_b32 v61, v38, v9 offset0:204 offset1:255
	;; [unrolled: 1-line block ×12, first 2 shown]
	ds_write_b32 v2, v50 offset:5304
	s_waitcnt lgkmcnt(0)
	; wave barrier
	s_waitcnt lgkmcnt(0)
	s_and_saveexec_b64 s[0:1], vcc
	s_cbranch_execz .LBB0_19
; %bb.18:
	v_lshlrev_b32_e32 v2, 1, v48
	v_lshlrev_b64 v[7:8], 3, v[2:3]
	v_lshlrev_b32_e32 v2, 1, v49
	v_mov_b32_e32 v69, s9
	v_add_co_u32_e32 v7, vcc, s8, v7
	v_lshlrev_b64 v[11:12], 3, v[2:3]
	v_addc_co_u32_e32 v8, vcc, v69, v8, vcc
	v_add_co_u32_e32 v11, vcc, s8, v11
	global_load_dwordx4 v[7:10], v[7:8], off offset:3536
	v_addc_co_u32_e32 v12, vcc, v69, v12, vcc
	global_load_dwordx4 v[11:14], v[11:12], off offset:3536
	v_lshlrev_b32_e32 v2, 1, v54
	v_lshlrev_b64 v[18:19], 3, v[2:3]
	v_add_u32_e32 v80, 0xc00, v61
	v_add_co_u32_e32 v18, vcc, s8, v18
	v_addc_co_u32_e32 v19, vcc, v69, v19, vcc
	global_load_dwordx4 v[50:53], v[18:19], off offset:3536
	v_add_u32_e32 v2, 0x400, v61
	ds_read_b32 v15, v61 offset:5304
	v_add_u32_e32 v73, 0x1000, v61
	v_add_u32_e32 v74, 0x800, v61
	ds_read2_b32 v[18:19], v80 offset0:48 offset1:99
	ds_read2_b32 v[46:47], v2 offset0:152 offset1:203
	;; [unrolled: 1-line block ×5, first 2 shown]
	v_lshlrev_b32_e32 v2, 1, v55
	v_lshlrev_b64 v[56:57], 3, v[2:3]
	v_lshlrev_b32_e32 v2, 1, v62
	v_add_co_u32_e32 v56, vcc, s8, v56
	v_addc_co_u32_e32 v57, vcc, v69, v57, vcc
	global_load_dwordx4 v[56:59], v[56:57], off offset:3536
	v_lshlrev_b64 v[65:66], 3, v[2:3]
	v_add_co_u32_e32 v65, vcc, s8, v65
	v_addc_co_u32_e32 v66, vcc, v69, v66, vcc
	global_load_dwordx4 v[65:68], v[65:66], off offset:3536
	s_waitcnt vmcnt(4) lgkmcnt(4)
	v_mul_f32_e32 v2, v8, v19
	v_mul_f32_e32 v75, v10, v15
	;; [unrolled: 1-line block ×4, first 2 shown]
	v_fmac_f32_e32 v2, v5, v7
	v_fmac_f32_e32 v75, v6, v9
	v_fma_f32 v5, v7, v19, -v8
	v_fma_f32 v6, v9, v15, -v10
	s_waitcnt vmcnt(3)
	v_mul_f32_e32 v7, v4, v12
	v_mul_f32_e32 v8, v17, v14
	;; [unrolled: 1-line block ×3, first 2 shown]
	s_waitcnt lgkmcnt(1)
	v_mul_f32_e32 v14, v39, v14
	v_sub_f32_e32 v10, v2, v75
	v_add_f32_e32 v9, v5, v6
	v_add_f32_e32 v12, v2, v75
	;; [unrolled: 1-line block ×3, first 2 shown]
	v_fma_f32 v7, v11, v18, -v7
	v_fma_f32 v18, v13, v39, -v8
	v_fmac_f32_e32 v19, v4, v11
	v_fmac_f32_e32 v14, v17, v13
	v_sub_f32_e32 v15, v5, v6
	v_add_f32_e32 v76, v5, v46
	v_fma_f32 v5, -0.5, v9, v46
	v_add_f32_e32 v8, v2, v75
	v_add_f32_e32 v2, v7, v18
	;; [unrolled: 1-line block ×3, first 2 shown]
	v_fma_f32 v4, -0.5, v12, v30
	v_sub_f32_e32 v30, v7, v18
	v_add_f32_e32 v39, v27, v7
	v_mov_b32_e32 v7, v5
	v_fma_f32 v13, -0.5, v2, v27
	v_fma_f32 v12, -0.5, v11, v21
	v_add_f32_e32 v2, v21, v19
	v_sub_f32_e32 v17, v19, v14
	v_fmac_f32_e32 v5, 0xbf5db3d7, v10
	v_fmac_f32_e32 v7, 0x3f5db3d7, v10
	v_mov_b32_e32 v10, v12
	v_add_f32_e32 v14, v2, v14
	s_waitcnt vmcnt(2)
	v_mul_f32_e32 v2, v25, v51
	v_fmac_f32_e32 v12, 0xbf5db3d7, v30
	v_fmac_f32_e32 v10, 0x3f5db3d7, v30
	s_waitcnt lgkmcnt(0)
	v_fma_f32 v21, v50, v72, -v2
	v_mul_f32_e32 v2, v16, v53
	v_mul_f32_e32 v30, v72, v51
	v_fma_f32 v27, v52, v38, -v2
	v_fmac_f32_e32 v30, v25, v50
	v_mul_f32_e32 v25, v38, v53
	v_add_f32_e32 v2, v21, v27
	v_fmac_f32_e32 v25, v16, v52
	v_add_f32_e32 v9, v6, v76
	v_mov_b32_e32 v6, v4
	v_mov_b32_e32 v11, v13
	v_fma_f32 v19, -0.5, v2, v26
	v_add_f32_e32 v16, v30, v25
	v_fmac_f32_e32 v4, 0x3f5db3d7, v15
	v_fmac_f32_e32 v6, 0xbf5db3d7, v15
	;; [unrolled: 1-line block ×4, first 2 shown]
	v_add_f32_e32 v15, v39, v18
	v_sub_f32_e32 v2, v30, v25
	v_mov_b32_e32 v17, v19
	v_fma_f32 v18, -0.5, v16, v20
	v_fmac_f32_e32 v17, 0xbf5db3d7, v2
	v_sub_f32_e32 v38, v21, v27
	v_mov_b32_e32 v16, v18
	v_fmac_f32_e32 v19, 0x3f5db3d7, v2
	v_lshlrev_b32_e32 v2, 1, v63
	v_fmac_f32_e32 v16, 0x3f5db3d7, v38
	v_fmac_f32_e32 v18, 0xbf5db3d7, v38
	v_lshlrev_b64 v[38:39], 3, v[2:3]
	v_add_f32_e32 v2, v26, v21
	v_add_co_u32_e32 v38, vcc, s8, v38
	v_addc_co_u32_e32 v39, vcc, v69, v39, vcc
	global_load_dwordx4 v[50:53], v[38:39], off offset:3536
	ds_read2_b32 v[75:76], v73 offset0:98 offset1:149
	ds_read2_b32 v[77:78], v61 offset0:204 offset1:255
	v_add_f32_e32 v21, v2, v27
	v_add_f32_e32 v2, v20, v30
	;; [unrolled: 1-line block ×3, first 2 shown]
	s_waitcnt vmcnt(2)
	v_mul_f32_e32 v2, v24, v57
	v_fma_f32 v30, v56, v71, -v2
	v_mul_f32_e32 v2, v45, v59
	s_waitcnt lgkmcnt(1)
	v_fma_f32 v72, v58, v76, -v2
	v_add_f32_e32 v2, v30, v72
	v_mul_f32_e32 v71, v71, v57
	v_mul_f32_e32 v73, v76, v59
	s_waitcnt lgkmcnt(0)
	v_fma_f32 v27, -0.5, v2, v78
	v_fmac_f32_e32 v71, v24, v56
	v_fmac_f32_e32 v73, v45, v58
	v_sub_f32_e32 v45, v71, v73
	v_mov_b32_e32 v25, v27
	v_fmac_f32_e32 v25, 0xbf5db3d7, v45
	v_lshlrev_b32_e32 v2, 1, v64
	v_fmac_f32_e32 v27, 0x3f5db3d7, v45
	ds_read2_b32 v[45:46], v74 offset0:100 offset1:151
	v_lshlrev_b64 v[38:39], 3, v[2:3]
	v_add_f32_e32 v2, v71, v73
	v_fma_f32 v26, -0.5, v2, v43
	v_add_co_u32_e32 v38, vcc, s8, v38
	v_sub_f32_e32 v2, v30, v72
	v_mov_b32_e32 v24, v26
	v_addc_co_u32_e32 v39, vcc, v69, v39, vcc
	v_fmac_f32_e32 v24, 0x3f5db3d7, v2
	v_add_f32_e32 v30, v78, v30
	v_fmac_f32_e32 v26, 0xbf5db3d7, v2
	v_add_f32_e32 v2, v43, v71
	global_load_dwordx4 v[56:59], v[38:39], off offset:3536
	v_add_f32_e32 v39, v30, v72
	v_add_f32_e32 v38, v2, v73
	s_waitcnt vmcnt(2) lgkmcnt(0)
	v_mul_f32_e32 v30, v66, v46
	v_mul_f32_e32 v2, v41, v66
	v_fmac_f32_e32 v30, v41, v65
	v_fma_f32 v41, v65, v46, -v2
	v_lshlrev_b32_e32 v2, 1, v60
	v_lshlrev_b64 v[65:66], 3, v[2:3]
	v_mul_f32_e32 v2, v44, v68
	v_mul_f32_e32 v43, v68, v75
	v_add_co_u32_e32 v65, vcc, s8, v65
	v_fma_f32 v2, v67, v75, -v2
	v_fmac_f32_e32 v43, v44, v67
	v_addc_co_u32_e32 v66, vcc, v69, v66, vcc
	v_add_f32_e32 v44, v41, v2
	global_load_dwordx4 v[71:74], v[65:66], off offset:3536
	v_fma_f32 v66, -0.5, v44, v77
	v_add_f32_e32 v44, v30, v43
	v_fma_f32 v65, -0.5, v44, v42
	v_sub_f32_e32 v44, v41, v2
	v_add_f32_e32 v41, v41, v77
	v_add_f32_e32 v76, v2, v41
	;; [unrolled: 1-line block ×4, first 2 shown]
	v_lshlrev_b32_e32 v2, 1, v70
	v_lshlrev_b64 v[2:3], 3, v[2:3]
	v_mov_b32_e32 v67, v65
	v_add_co_u32_e32 v2, vcc, s8, v2
	v_addc_co_u32_e32 v3, vcc, v69, v3, vcc
	v_sub_f32_e32 v78, v30, v43
	v_fmac_f32_e32 v67, 0xbf5db3d7, v44
	v_fmac_f32_e32 v65, 0x3f5db3d7, v44
	global_load_dwordx4 v[41:44], v[2:3], off offset:3536
	v_mov_b32_e32 v68, v66
	v_add_u32_e32 v2, 0xe00, v61
	v_fmac_f32_e32 v68, 0x3f5db3d7, v78
	v_fmac_f32_e32 v66, 0xbf5db3d7, v78
	ds_read2_b32 v[2:3], v2 offset0:124 offset1:175
	ds_read2_b32 v[77:78], v61 offset0:102 offset1:153
	s_waitcnt vmcnt(3)
	v_mul_f32_e32 v30, v40, v51
	v_mul_f32_e32 v46, v37, v53
	v_fma_f32 v30, v50, v45, -v30
	s_waitcnt lgkmcnt(1)
	v_fma_f32 v69, v52, v3, -v46
	v_add_f32_e32 v46, v30, v69
	v_mul_f32_e32 v81, v45, v51
	v_mul_f32_e32 v3, v3, v53
	s_waitcnt lgkmcnt(0)
	v_fma_f32 v46, -0.5, v46, v78
	v_fmac_f32_e32 v81, v40, v50
	v_fmac_f32_e32 v3, v37, v52
	v_sub_f32_e32 v37, v81, v3
	v_mov_b32_e32 v51, v46
	v_fmac_f32_e32 v51, 0xbf5db3d7, v37
	v_fmac_f32_e32 v46, 0x3f5db3d7, v37
	v_add_u32_e32 v37, 0x600, v61
	ds_read2_b32 v[52:53], v37 offset0:126 offset1:177
	v_add_f32_e32 v40, v81, v3
	v_fma_f32 v45, -0.5, v40, v35
	v_sub_f32_e32 v40, v30, v69
	v_mov_b32_e32 v50, v45
	v_add_f32_e32 v30, v78, v30
	v_fmac_f32_e32 v50, 0x3f5db3d7, v40
	v_fmac_f32_e32 v45, 0xbf5db3d7, v40
	v_add_f32_e32 v79, v30, v69
	v_add_f32_e32 v30, v35, v81
	v_add_f32_e32 v78, v30, v3
	s_waitcnt vmcnt(2) lgkmcnt(0)
	v_mul_f32_e32 v40, v53, v57
	v_mul_f32_e32 v3, v33, v57
	v_fmac_f32_e32 v40, v33, v56
	v_mul_f32_e32 v33, v2, v59
	v_fma_f32 v30, v56, v53, -v3
	v_mul_f32_e32 v3, v36, v59
	v_fmac_f32_e32 v33, v36, v58
	v_fma_f32 v37, v58, v2, -v3
	v_add_f32_e32 v2, v40, v33
	v_add_f32_e32 v3, v30, v37
	v_fma_f32 v2, -0.5, v2, v34
	v_sub_f32_e32 v56, v30, v37
	v_add_f32_e32 v30, v77, v30
	v_mov_b32_e32 v35, v2
	v_add_f32_e32 v57, v30, v37
	v_add_f32_e32 v30, v34, v40
	v_sub_f32_e32 v53, v40, v33
	v_fmac_f32_e32 v35, 0x3f5db3d7, v56
	v_fmac_f32_e32 v2, 0xbf5db3d7, v56
	v_add_f32_e32 v56, v30, v33
	ds_read2_b32 v[33:34], v80 offset0:150 offset1:201
	ds_read2_b32 v[58:59], v61 offset1:51
	s_waitcnt vmcnt(1)
	v_mul_f32_e32 v30, v32, v72
	v_mul_f32_e32 v61, v52, v72
	v_fma_f32 v37, v71, v52, -v30
	v_mul_f32_e32 v30, v29, v74
	v_fmac_f32_e32 v61, v32, v71
	s_waitcnt lgkmcnt(1)
	v_mul_f32_e32 v32, v34, v74
	v_fma_f32 v40, v73, v34, -v30
	v_fmac_f32_e32 v32, v29, v73
	v_fma_f32 v3, -0.5, v3, v77
	v_add_f32_e32 v30, v37, v40
	v_add_f32_e32 v29, v61, v32
	v_mov_b32_e32 v36, v3
	s_waitcnt lgkmcnt(0)
	v_fma_f32 v30, -0.5, v30, v59
	v_fma_f32 v29, -0.5, v29, v23
	v_add_f32_e32 v23, v23, v61
	v_fmac_f32_e32 v36, 0xbf5db3d7, v53
	v_fmac_f32_e32 v3, 0x3f5db3d7, v53
	v_sub_f32_e32 v34, v61, v32
	v_mov_b32_e32 v53, v30
	v_add_f32_e32 v71, v23, v32
	s_waitcnt vmcnt(0)
	v_mul_f32_e32 v23, v31, v42
	v_fmac_f32_e32 v53, 0xbf5db3d7, v34
	v_fmac_f32_e32 v30, 0x3f5db3d7, v34
	v_add_f32_e32 v34, v59, v37
	v_fma_f32 v23, v41, v47, -v23
	v_mul_f32_e32 v32, v28, v44
	v_mul_f32_e32 v47, v47, v42
	v_sub_f32_e32 v69, v37, v40
	v_add_f32_e32 v72, v34, v40
	v_fma_f32 v37, v43, v33, -v32
	v_fmac_f32_e32 v47, v31, v41
	v_mul_f32_e32 v44, v33, v44
	v_mad_u64_u32 v[40:41], s[0:1], s2, v70, 0
	v_add_f32_e32 v32, v23, v37
	v_fmac_f32_e32 v44, v28, v43
	v_fma_f32 v32, -0.5, v32, v58
	v_add_f32_e32 v31, v47, v44
	v_sub_f32_e32 v28, v47, v44
	v_mov_b32_e32 v34, v32
	v_fma_f32 v31, -0.5, v31, v22
	v_fmac_f32_e32 v34, 0xbf5db3d7, v28
	v_sub_f32_e32 v42, v23, v37
	v_mov_b32_e32 v33, v31
	v_fmac_f32_e32 v32, 0x3f5db3d7, v28
	v_add_f32_e32 v28, v58, v23
	v_mov_b32_e32 v23, v41
	v_fmac_f32_e32 v33, 0x3f5db3d7, v42
	v_fmac_f32_e32 v31, 0xbf5db3d7, v42
	v_mad_u64_u32 v[41:42], s[0:1], s3, v70, v[23:24]
	v_add_f32_e32 v23, v28, v37
	v_add_f32_e32 v22, v22, v47
	v_mov_b32_e32 v28, s13
	v_add_co_u32_e32 v37, vcc, s12, v0
	v_add_u32_e32 v42, 0x1cb, v70
	v_add_f32_e32 v22, v22, v44
	v_addc_co_u32_e32 v44, vcc, v28, v1, vcc
	v_lshlrev_b64 v[0:1], 3, v[40:41]
	v_mad_u64_u32 v[40:41], s[0:1], s2, v42, 0
	v_mov_b32_e32 v52, v29
	v_fmac_f32_e32 v29, 0xbf5db3d7, v69
	v_mov_b32_e32 v28, v41
	v_mad_u64_u32 v[41:42], s[0:1], s3, v42, v[28:29]
	v_add_u32_e32 v28, 0x396, v70
	v_mad_u64_u32 v[42:43], s[0:1], s2, v28, 0
	v_add_co_u32_e32 v0, vcc, v37, v0
	v_addc_co_u32_e32 v1, vcc, v44, v1, vcc
	global_store_dwordx2 v[0:1], v[22:23], off
	v_mov_b32_e32 v22, v43
	v_mad_u64_u32 v[22:23], s[0:1], s3, v28, v[22:23]
	v_lshlrev_b64 v[0:1], 3, v[40:41]
	v_add_u32_e32 v28, 0x1fe, v70
	v_mov_b32_e32 v43, v22
	v_mad_u64_u32 v[22:23], s[4:5], s2, v60, 0
	v_add_co_u32_e32 v0, vcc, v37, v0
	v_addc_co_u32_e32 v1, vcc, v44, v1, vcc
	global_store_dwordx2 v[0:1], v[31:32], off
	v_mad_u64_u32 v[31:32], s[4:5], s3, v60, v[23:24]
	v_lshlrev_b64 v[0:1], 3, v[42:43]
	v_mad_u64_u32 v[40:41], s[4:5], s2, v28, 0
	v_add_co_u32_e32 v0, vcc, v37, v0
	v_addc_co_u32_e32 v1, vcc, v44, v1, vcc
	v_mov_b32_e32 v23, v31
	global_store_dwordx2 v[0:1], v[33:34], off
	v_lshlrev_b64 v[0:1], 3, v[22:23]
	v_mov_b32_e32 v22, v41
	v_mad_u64_u32 v[22:23], s[4:5], s3, v28, v[22:23]
	v_add_u32_e32 v28, 0x3c9, v70
	v_add_co_u32_e32 v0, vcc, v37, v0
	v_mov_b32_e32 v41, v22
	v_mad_u64_u32 v[22:23], s[4:5], s2, v28, 0
	v_addc_co_u32_e32 v1, vcc, v44, v1, vcc
	v_mad_u64_u32 v[31:32], s[4:5], s3, v28, v[23:24]
	global_store_dwordx2 v[0:1], v[71:72], off
	v_lshlrev_b64 v[0:1], 3, v[40:41]
	v_mad_u64_u32 v[32:33], s[4:5], s2, v64, 0
	v_add_co_u32_e32 v0, vcc, v37, v0
	v_addc_co_u32_e32 v1, vcc, v44, v1, vcc
	v_mov_b32_e32 v23, v31
	global_store_dwordx2 v[0:1], v[29:30], off
	v_lshlrev_b64 v[0:1], 3, v[22:23]
	v_mov_b32_e32 v22, v33
	v_mad_u64_u32 v[22:23], s[4:5], s3, v64, v[22:23]
	v_add_u32_e32 v28, 0x231, v70
	v_add_co_u32_e32 v0, vcc, v37, v0
	v_mov_b32_e32 v33, v22
	v_mad_u64_u32 v[22:23], s[4:5], s2, v28, 0
	v_fmac_f32_e32 v52, 0x3f5db3d7, v69
	v_addc_co_u32_e32 v1, vcc, v44, v1, vcc
	v_mad_u64_u32 v[28:29], s[4:5], s3, v28, v[23:24]
	global_store_dwordx2 v[0:1], v[52:53], off
	v_lshlrev_b64 v[0:1], 3, v[32:33]
	v_add_u32_e32 v31, 0x3fc, v70
	v_add_co_u32_e32 v0, vcc, v37, v0
	v_addc_co_u32_e32 v1, vcc, v44, v1, vcc
	v_mad_u64_u32 v[29:30], s[4:5], s2, v31, 0
	v_mov_b32_e32 v23, v28
	global_store_dwordx2 v[0:1], v[56:57], off
	v_lshlrev_b64 v[0:1], 3, v[22:23]
	v_mov_b32_e32 v22, v30
	v_add_co_u32_e32 v0, vcc, v37, v0
	v_addc_co_u32_e32 v1, vcc, v44, v1, vcc
	v_mad_u64_u32 v[22:23], s[4:5], s3, v31, v[22:23]
	global_store_dwordx2 v[0:1], v[2:3], off
	v_mad_u64_u32 v[2:3], s[4:5], s2, v63, 0
	v_mov_b32_e32 v30, v22
	v_lshlrev_b64 v[0:1], 3, v[29:30]
	v_mad_u64_u32 v[22:23], s[4:5], s3, v63, v[3:4]
	v_add_u32_e32 v23, 0x264, v70
	v_mad_u64_u32 v[28:29], s[4:5], s2, v23, 0
	v_add_co_u32_e32 v0, vcc, v37, v0
	v_addc_co_u32_e32 v1, vcc, v44, v1, vcc
	v_mov_b32_e32 v3, v22
	global_store_dwordx2 v[0:1], v[35:36], off
	v_lshlrev_b64 v[0:1], 3, v[2:3]
	v_mov_b32_e32 v2, v29
	v_mad_u64_u32 v[2:3], s[4:5], s3, v23, v[2:3]
	v_add_co_u32_e32 v0, vcc, v37, v0
	v_addc_co_u32_e32 v1, vcc, v44, v1, vcc
	v_mov_b32_e32 v29, v2
	v_add_u32_e32 v22, 0x42f, v70
	s_mov_b32 s1, 0x4763d59d
	global_store_dwordx2 v[0:1], v[78:79], off
	v_lshlrev_b64 v[0:1], 3, v[28:29]
	v_mad_u64_u32 v[2:3], s[4:5], s2, v22, 0
	v_mul_hi_u32 v28, v62, s1
	s_movk_i32 s0, 0x396
	v_mad_u64_u32 v[22:23], s[4:5], s3, v22, v[3:4]
	v_lshrrev_b32_e32 v3, 7, v28
	v_mad_u32_u24 v30, v3, s0, v62
	v_mad_u64_u32 v[28:29], s[4:5], s2, v30, 0
	v_add_co_u32_e32 v0, vcc, v37, v0
	v_addc_co_u32_e32 v1, vcc, v44, v1, vcc
	v_mov_b32_e32 v3, v22
	global_store_dwordx2 v[0:1], v[45:46], off
	v_lshlrev_b64 v[0:1], 3, v[2:3]
	v_mov_b32_e32 v2, v29
	v_mad_u64_u32 v[2:3], s[4:5], s3, v30, v[2:3]
	v_add_u32_e32 v22, 0x1cb, v30
	v_add_co_u32_e32 v0, vcc, v37, v0
	v_mov_b32_e32 v29, v2
	v_mad_u64_u32 v[2:3], s[4:5], s2, v22, 0
	v_addc_co_u32_e32 v1, vcc, v44, v1, vcc
	v_mad_u64_u32 v[22:23], s[4:5], s3, v22, v[3:4]
	v_add_u32_e32 v23, 0x396, v30
	global_store_dwordx2 v[0:1], v[50:51], off
	v_lshlrev_b64 v[0:1], 3, v[28:29]
	v_mad_u64_u32 v[28:29], s[4:5], s2, v23, 0
	v_add_co_u32_e32 v0, vcc, v37, v0
	v_addc_co_u32_e32 v1, vcc, v44, v1, vcc
	v_mov_b32_e32 v3, v22
	global_store_dwordx2 v[0:1], v[75:76], off
	v_lshlrev_b64 v[0:1], 3, v[2:3]
	v_mov_b32_e32 v2, v29
	v_mad_u64_u32 v[2:3], s[4:5], s3, v23, v[2:3]
	v_mul_hi_u32 v3, v55, s1
	v_add_co_u32_e32 v0, vcc, v37, v0
	v_mov_b32_e32 v29, v2
	v_lshrrev_b32_e32 v2, 7, v3
	v_mad_u32_u24 v30, v2, s0, v55
	v_mad_u64_u32 v[2:3], s[4:5], s2, v30, 0
	v_addc_co_u32_e32 v1, vcc, v44, v1, vcc
	v_mad_u64_u32 v[22:23], s[4:5], s3, v30, v[3:4]
	v_add_u32_e32 v23, 0x1cb, v30
	global_store_dwordx2 v[0:1], v[67:68], off
	v_lshlrev_b64 v[0:1], 3, v[28:29]
	v_mad_u64_u32 v[28:29], s[4:5], s2, v23, 0
	v_add_co_u32_e32 v0, vcc, v37, v0
	v_addc_co_u32_e32 v1, vcc, v44, v1, vcc
	v_mov_b32_e32 v3, v22
	global_store_dwordx2 v[0:1], v[65:66], off
	v_lshlrev_b64 v[0:1], 3, v[2:3]
	v_mov_b32_e32 v2, v29
	v_mad_u64_u32 v[2:3], s[4:5], s3, v23, v[2:3]
	v_add_u32_e32 v22, 0x396, v30
	v_add_co_u32_e32 v0, vcc, v37, v0
	v_mov_b32_e32 v29, v2
	v_mad_u64_u32 v[2:3], s[4:5], s2, v22, 0
	v_addc_co_u32_e32 v1, vcc, v44, v1, vcc
	v_mad_u64_u32 v[22:23], s[4:5], s3, v22, v[3:4]
	global_store_dwordx2 v[0:1], v[38:39], off
	v_lshlrev_b64 v[0:1], 3, v[28:29]
	v_mad_u64_u32 v[28:29], s[4:5], s2, v54, 0
	v_add_co_u32_e32 v0, vcc, v37, v0
	v_addc_co_u32_e32 v1, vcc, v44, v1, vcc
	v_mov_b32_e32 v3, v22
	global_store_dwordx2 v[0:1], v[26:27], off
	v_lshlrev_b64 v[0:1], 3, v[2:3]
	v_mov_b32_e32 v2, v29
	v_mad_u64_u32 v[2:3], s[4:5], s3, v54, v[2:3]
	v_add_u32_e32 v22, 0x2fd, v70
	v_add_co_u32_e32 v0, vcc, v37, v0
	v_mov_b32_e32 v29, v2
	v_mad_u64_u32 v[2:3], s[4:5], s2, v22, 0
	v_addc_co_u32_e32 v1, vcc, v44, v1, vcc
	global_store_dwordx2 v[0:1], v[24:25], off
	v_mad_u64_u32 v[22:23], s[4:5], s3, v22, v[3:4]
	v_add_u32_e32 v25, 0x4c8, v70
	v_lshlrev_b64 v[0:1], 3, v[28:29]
	v_mad_u64_u32 v[23:24], s[4:5], s2, v25, 0
	v_add_co_u32_e32 v0, vcc, v37, v0
	v_addc_co_u32_e32 v1, vcc, v44, v1, vcc
	v_mov_b32_e32 v3, v22
	global_store_dwordx2 v[0:1], v[20:21], off
	v_lshlrev_b64 v[0:1], 3, v[2:3]
	v_mov_b32_e32 v2, v24
	v_mad_u64_u32 v[2:3], s[4:5], s3, v25, v[2:3]
	v_mul_hi_u32 v3, v49, s1
	v_add_co_u32_e32 v0, vcc, v37, v0
	v_mov_b32_e32 v24, v2
	v_lshrrev_b32_e32 v2, 7, v3
	v_mad_u32_u24 v21, v2, s0, v49
	v_mad_u64_u32 v[2:3], s[4:5], s2, v21, 0
	v_addc_co_u32_e32 v1, vcc, v44, v1, vcc
	global_store_dwordx2 v[0:1], v[18:19], off
	v_mad_u64_u32 v[18:19], s[4:5], s3, v21, v[3:4]
	v_add_u32_e32 v22, 0x1cb, v21
	v_lshlrev_b64 v[0:1], 3, v[23:24]
	v_mad_u64_u32 v[19:20], s[4:5], s2, v22, 0
	v_add_co_u32_e32 v0, vcc, v37, v0
	v_addc_co_u32_e32 v1, vcc, v44, v1, vcc
	v_mov_b32_e32 v3, v18
	global_store_dwordx2 v[0:1], v[16:17], off
	v_lshlrev_b64 v[0:1], 3, v[2:3]
	v_mov_b32_e32 v2, v20
	v_mad_u64_u32 v[2:3], s[4:5], s3, v22, v[2:3]
	v_add_co_u32_e32 v0, vcc, v37, v0
	v_addc_co_u32_e32 v1, vcc, v44, v1, vcc
	global_store_dwordx2 v[0:1], v[14:15], off
	v_add_u32_e32 v14, 0x396, v21
	v_mov_b32_e32 v20, v2
	v_mad_u64_u32 v[2:3], s[4:5], s2, v14, 0
	v_mul_hi_u32 v16, v48, s1
	v_lshlrev_b64 v[0:1], 3, v[19:20]
	v_mad_u64_u32 v[14:15], s[4:5], s3, v14, v[3:4]
	v_lshrrev_b32_e32 v3, 7, v16
	v_mad_u32_u24 v17, v3, s0, v48
	v_mad_u64_u32 v[15:16], s[0:1], s2, v17, 0
	v_add_co_u32_e32 v0, vcc, v37, v0
	v_addc_co_u32_e32 v1, vcc, v44, v1, vcc
	v_mov_b32_e32 v3, v14
	global_store_dwordx2 v[0:1], v[12:13], off
	v_lshlrev_b64 v[0:1], 3, v[2:3]
	v_mov_b32_e32 v2, v16
	v_mad_u64_u32 v[2:3], s[0:1], s3, v17, v[2:3]
	v_add_co_u32_e32 v0, vcc, v37, v0
	v_addc_co_u32_e32 v1, vcc, v44, v1, vcc
	global_store_dwordx2 v[0:1], v[10:11], off
	v_add_u32_e32 v10, 0x1cb, v17
	v_mov_b32_e32 v16, v2
	v_mad_u64_u32 v[2:3], s[0:1], s2, v10, 0
	v_add_u32_e32 v13, 0x396, v17
	v_lshlrev_b64 v[0:1], 3, v[15:16]
	v_mad_u64_u32 v[10:11], s[0:1], s3, v10, v[3:4]
	v_mad_u64_u32 v[11:12], s[0:1], s2, v13, 0
	v_add_co_u32_e32 v0, vcc, v37, v0
	v_addc_co_u32_e32 v1, vcc, v44, v1, vcc
	v_mov_b32_e32 v3, v10
	global_store_dwordx2 v[0:1], v[8:9], off
	v_lshlrev_b64 v[0:1], 3, v[2:3]
	v_mov_b32_e32 v2, v12
	v_mad_u64_u32 v[2:3], s[0:1], s3, v13, v[2:3]
	v_add_co_u32_e32 v0, vcc, v37, v0
	v_addc_co_u32_e32 v1, vcc, v44, v1, vcc
	v_mov_b32_e32 v12, v2
	global_store_dwordx2 v[0:1], v[6:7], off
	v_lshlrev_b64 v[0:1], 3, v[11:12]
	v_add_co_u32_e32 v0, vcc, v37, v0
	v_addc_co_u32_e32 v1, vcc, v44, v1, vcc
	global_store_dwordx2 v[0:1], v[4:5], off
.LBB0_19:
	s_endpgm
	.section	.rodata,"a",@progbits
	.p2align	6, 0x0
	.amdhsa_kernel fft_rtc_back_len1377_factors_17_3_9_3_wgs_51_tpt_51_halfLds_sp_ip_CI_sbrr_dirReg
		.amdhsa_group_segment_fixed_size 0
		.amdhsa_private_segment_fixed_size 0
		.amdhsa_kernarg_size 88
		.amdhsa_user_sgpr_count 6
		.amdhsa_user_sgpr_private_segment_buffer 1
		.amdhsa_user_sgpr_dispatch_ptr 0
		.amdhsa_user_sgpr_queue_ptr 0
		.amdhsa_user_sgpr_kernarg_segment_ptr 1
		.amdhsa_user_sgpr_dispatch_id 0
		.amdhsa_user_sgpr_flat_scratch_init 0
		.amdhsa_user_sgpr_private_segment_size 0
		.amdhsa_uses_dynamic_stack 0
		.amdhsa_system_sgpr_private_segment_wavefront_offset 0
		.amdhsa_system_sgpr_workgroup_id_x 1
		.amdhsa_system_sgpr_workgroup_id_y 0
		.amdhsa_system_sgpr_workgroup_id_z 0
		.amdhsa_system_sgpr_workgroup_info 0
		.amdhsa_system_vgpr_workitem_id 0
		.amdhsa_next_free_vgpr 123
		.amdhsa_next_free_sgpr 24
		.amdhsa_reserve_vcc 1
		.amdhsa_reserve_flat_scratch 0
		.amdhsa_float_round_mode_32 0
		.amdhsa_float_round_mode_16_64 0
		.amdhsa_float_denorm_mode_32 3
		.amdhsa_float_denorm_mode_16_64 3
		.amdhsa_dx10_clamp 1
		.amdhsa_ieee_mode 1
		.amdhsa_fp16_overflow 0
		.amdhsa_exception_fp_ieee_invalid_op 0
		.amdhsa_exception_fp_denorm_src 0
		.amdhsa_exception_fp_ieee_div_zero 0
		.amdhsa_exception_fp_ieee_overflow 0
		.amdhsa_exception_fp_ieee_underflow 0
		.amdhsa_exception_fp_ieee_inexact 0
		.amdhsa_exception_int_div_zero 0
	.end_amdhsa_kernel
	.text
.Lfunc_end0:
	.size	fft_rtc_back_len1377_factors_17_3_9_3_wgs_51_tpt_51_halfLds_sp_ip_CI_sbrr_dirReg, .Lfunc_end0-fft_rtc_back_len1377_factors_17_3_9_3_wgs_51_tpt_51_halfLds_sp_ip_CI_sbrr_dirReg
                                        ; -- End function
	.section	.AMDGPU.csdata,"",@progbits
; Kernel info:
; codeLenInByte = 21708
; NumSgprs: 28
; NumVgprs: 123
; ScratchSize: 0
; MemoryBound: 0
; FloatMode: 240
; IeeeMode: 1
; LDSByteSize: 0 bytes/workgroup (compile time only)
; SGPRBlocks: 3
; VGPRBlocks: 30
; NumSGPRsForWavesPerEU: 28
; NumVGPRsForWavesPerEU: 123
; Occupancy: 2
; WaveLimiterHint : 1
; COMPUTE_PGM_RSRC2:SCRATCH_EN: 0
; COMPUTE_PGM_RSRC2:USER_SGPR: 6
; COMPUTE_PGM_RSRC2:TRAP_HANDLER: 0
; COMPUTE_PGM_RSRC2:TGID_X_EN: 1
; COMPUTE_PGM_RSRC2:TGID_Y_EN: 0
; COMPUTE_PGM_RSRC2:TGID_Z_EN: 0
; COMPUTE_PGM_RSRC2:TIDIG_COMP_CNT: 0
	.type	__hip_cuid_228d25eb32e4711b,@object ; @__hip_cuid_228d25eb32e4711b
	.section	.bss,"aw",@nobits
	.globl	__hip_cuid_228d25eb32e4711b
__hip_cuid_228d25eb32e4711b:
	.byte	0                               ; 0x0
	.size	__hip_cuid_228d25eb32e4711b, 1

	.ident	"AMD clang version 19.0.0git (https://github.com/RadeonOpenCompute/llvm-project roc-6.4.0 25133 c7fe45cf4b819c5991fe208aaa96edf142730f1d)"
	.section	".note.GNU-stack","",@progbits
	.addrsig
	.addrsig_sym __hip_cuid_228d25eb32e4711b
	.amdgpu_metadata
---
amdhsa.kernels:
  - .args:
      - .actual_access:  read_only
        .address_space:  global
        .offset:         0
        .size:           8
        .value_kind:     global_buffer
      - .offset:         8
        .size:           8
        .value_kind:     by_value
      - .actual_access:  read_only
        .address_space:  global
        .offset:         16
        .size:           8
        .value_kind:     global_buffer
      - .actual_access:  read_only
        .address_space:  global
        .offset:         24
        .size:           8
        .value_kind:     global_buffer
      - .offset:         32
        .size:           8
        .value_kind:     by_value
      - .actual_access:  read_only
        .address_space:  global
        .offset:         40
        .size:           8
        .value_kind:     global_buffer
      - .actual_access:  read_only
        .address_space:  global
        .offset:         48
        .size:           8
        .value_kind:     global_buffer
      - .offset:         56
        .size:           4
        .value_kind:     by_value
      - .actual_access:  read_only
        .address_space:  global
        .offset:         64
        .size:           8
        .value_kind:     global_buffer
      - .actual_access:  read_only
        .address_space:  global
        .offset:         72
        .size:           8
        .value_kind:     global_buffer
      - .address_space:  global
        .offset:         80
        .size:           8
        .value_kind:     global_buffer
    .group_segment_fixed_size: 0
    .kernarg_segment_align: 8
    .kernarg_segment_size: 88
    .language:       OpenCL C
    .language_version:
      - 2
      - 0
    .max_flat_workgroup_size: 51
    .name:           fft_rtc_back_len1377_factors_17_3_9_3_wgs_51_tpt_51_halfLds_sp_ip_CI_sbrr_dirReg
    .private_segment_fixed_size: 0
    .sgpr_count:     28
    .sgpr_spill_count: 0
    .symbol:         fft_rtc_back_len1377_factors_17_3_9_3_wgs_51_tpt_51_halfLds_sp_ip_CI_sbrr_dirReg.kd
    .uniform_work_group_size: 1
    .uses_dynamic_stack: false
    .vgpr_count:     123
    .vgpr_spill_count: 0
    .wavefront_size: 64
amdhsa.target:   amdgcn-amd-amdhsa--gfx906
amdhsa.version:
  - 1
  - 2
...

	.end_amdgpu_metadata
